;; amdgpu-corpus repo=ROCm/rocBLAS kind=compiled arch=gfx1030 opt=O3
	.amdgcn_target "amdgcn-amd-amdhsa--gfx1030"
	.amdhsa_code_object_version 6
	.section	.text._ZL25rocblas_symm_scale_kernelILi128ELi8EPKfPfEviiT1_T2_llli,"axG",@progbits,_ZL25rocblas_symm_scale_kernelILi128ELi8EPKfPfEviiT1_T2_llli,comdat
	.globl	_ZL25rocblas_symm_scale_kernelILi128ELi8EPKfPfEviiT1_T2_llli ; -- Begin function _ZL25rocblas_symm_scale_kernelILi128ELi8EPKfPfEviiT1_T2_llli
	.p2align	8
	.type	_ZL25rocblas_symm_scale_kernelILi128ELi8EPKfPfEviiT1_T2_llli,@function
_ZL25rocblas_symm_scale_kernelILi128ELi8EPKfPfEviiT1_T2_llli: ; @_ZL25rocblas_symm_scale_kernelILi128ELi8EPKfPfEviiT1_T2_llli
; %bb.0:
	s_load_dwordx8 s[12:19], s[4:5], 0x8
	s_waitcnt lgkmcnt(0)
	s_load_dword s1, s[12:13], 0x0
	s_waitcnt lgkmcnt(0)
	v_cmp_eq_f32_e64 s0, s1, 1.0
	s_and_b32 vcc_lo, exec_lo, s0
	s_cbranch_vccnz .LBB0_7
; %bb.1:
	s_load_dwordx2 s[10:11], s[4:5], 0x0
	v_lshl_add_u32 v1, s7, 3, v1
	v_mov_b32_e32 v2, 0
	v_lshl_add_u32 v3, s6, 7, v0
	s_waitcnt lgkmcnt(0)
	s_ashr_i32 s3, s11, 31
	s_mov_b32 s2, s11
	v_cmp_gt_u32_e64 s0, s10, v3
	v_cmp_gt_i64_e32 vcc_lo, s[2:3], v[1:2]
	s_and_b32 s0, s0, vcc_lo
	s_and_saveexec_b32 s6, s0
	s_cbranch_execz .LBB0_7
; %bb.2:
	s_clause 0x1
	s_load_dword s0, s[4:5], 0x3c
	s_load_dwordx2 s[4:5], s[4:5], 0x28
	v_mad_u64_u32 v[5:6], null, s18, v1, 0
	v_mov_b32_e32 v4, v2
	s_lshl_b64 s[10:11], s[16:17], 2
	v_cmp_neq_f32_e64 s7, s1, 0
	v_lshlrev_b64 v[3:4], 2, v[3:4]
	v_mov_b32_e32 v0, v6
	v_mad_u64_u32 v[6:7], null, s19, v1, v[0:1]
	s_waitcnt lgkmcnt(0)
	s_lshl_b32 s6, s0, 3
	s_mul_i32 s0, s5, s8
	s_mul_hi_u32 s5, s4, s8
	s_mul_i32 s4, s4, s8
	s_add_i32 s5, s5, s0
	v_lshlrev_b64 v[5:6], 2, v[5:6]
	s_lshl_b64 s[4:5], s[4:5], 2
	s_mul_i32 s0, s19, s6
	s_add_u32 s4, s10, s4
	s_addc_u32 s5, s11, s5
	s_mov_b32 s8, 0
	v_add_co_u32 v0, vcc_lo, s4, v5
	v_add_co_ci_u32_e64 v5, null, s5, v6, vcc_lo
	s_mul_hi_u32 s4, s18, s6
	v_add_co_u32 v0, vcc_lo, v0, v3
	v_add_co_ci_u32_e64 v4, null, v5, v4, vcc_lo
	s_add_i32 s5, s4, s0
	v_add_co_u32 v3, vcc_lo, s14, v0
	v_add_co_ci_u32_e64 v4, null, s15, v4, vcc_lo
	s_mul_i32 s4, s18, s6
	s_lshl_b64 s[4:5], s[4:5], 2
	s_branch .LBB0_5
	.p2align	6
.LBB0_3:                                ;   in Loop: Header=BB0_5 Depth=1
	global_load_dword v0, v[3:4], off
	s_waitcnt vmcnt(0)
	v_mul_f32_e32 v0, s1, v0
.LBB0_4:                                ;   in Loop: Header=BB0_5 Depth=1
	v_add_co_u32 v1, vcc_lo, v1, s6
	v_add_co_ci_u32_e64 v2, null, 0, v2, vcc_lo
	global_store_dword v[3:4], v0, off
	v_add_co_u32 v3, s0, v3, s4
	v_cmp_le_i64_e32 vcc_lo, s[2:3], v[1:2]
	v_add_co_ci_u32_e64 v4, null, s5, v4, s0
	s_or_b32 s8, vcc_lo, s8
	s_andn2_b32 exec_lo, exec_lo, s8
	s_cbranch_execz .LBB0_7
.LBB0_5:                                ; =>This Inner Loop Header: Depth=1
	s_andn2_b32 vcc_lo, exec_lo, s7
	s_cbranch_vccz .LBB0_3
; %bb.6:                                ;   in Loop: Header=BB0_5 Depth=1
	v_mov_b32_e32 v0, 0
	s_branch .LBB0_4
.LBB0_7:
	s_endpgm
	.section	.rodata,"a",@progbits
	.p2align	6, 0x0
	.amdhsa_kernel _ZL25rocblas_symm_scale_kernelILi128ELi8EPKfPfEviiT1_T2_llli
		.amdhsa_group_segment_fixed_size 0
		.amdhsa_private_segment_fixed_size 0
		.amdhsa_kernarg_size 312
		.amdhsa_user_sgpr_count 6
		.amdhsa_user_sgpr_private_segment_buffer 1
		.amdhsa_user_sgpr_dispatch_ptr 0
		.amdhsa_user_sgpr_queue_ptr 0
		.amdhsa_user_sgpr_kernarg_segment_ptr 1
		.amdhsa_user_sgpr_dispatch_id 0
		.amdhsa_user_sgpr_flat_scratch_init 0
		.amdhsa_user_sgpr_private_segment_size 0
		.amdhsa_wavefront_size32 1
		.amdhsa_uses_dynamic_stack 0
		.amdhsa_system_sgpr_private_segment_wavefront_offset 0
		.amdhsa_system_sgpr_workgroup_id_x 1
		.amdhsa_system_sgpr_workgroup_id_y 1
		.amdhsa_system_sgpr_workgroup_id_z 1
		.amdhsa_system_sgpr_workgroup_info 0
		.amdhsa_system_vgpr_workitem_id 1
		.amdhsa_next_free_vgpr 8
		.amdhsa_next_free_sgpr 20
		.amdhsa_reserve_vcc 1
		.amdhsa_reserve_flat_scratch 0
		.amdhsa_float_round_mode_32 0
		.amdhsa_float_round_mode_16_64 0
		.amdhsa_float_denorm_mode_32 3
		.amdhsa_float_denorm_mode_16_64 3
		.amdhsa_dx10_clamp 1
		.amdhsa_ieee_mode 1
		.amdhsa_fp16_overflow 0
		.amdhsa_workgroup_processor_mode 1
		.amdhsa_memory_ordered 1
		.amdhsa_forward_progress 1
		.amdhsa_shared_vgpr_count 0
		.amdhsa_exception_fp_ieee_invalid_op 0
		.amdhsa_exception_fp_denorm_src 0
		.amdhsa_exception_fp_ieee_div_zero 0
		.amdhsa_exception_fp_ieee_overflow 0
		.amdhsa_exception_fp_ieee_underflow 0
		.amdhsa_exception_fp_ieee_inexact 0
		.amdhsa_exception_int_div_zero 0
	.end_amdhsa_kernel
	.section	.text._ZL25rocblas_symm_scale_kernelILi128ELi8EPKfPfEviiT1_T2_llli,"axG",@progbits,_ZL25rocblas_symm_scale_kernelILi128ELi8EPKfPfEviiT1_T2_llli,comdat
.Lfunc_end0:
	.size	_ZL25rocblas_symm_scale_kernelILi128ELi8EPKfPfEviiT1_T2_llli, .Lfunc_end0-_ZL25rocblas_symm_scale_kernelILi128ELi8EPKfPfEviiT1_T2_llli
                                        ; -- End function
	.set _ZL25rocblas_symm_scale_kernelILi128ELi8EPKfPfEviiT1_T2_llli.num_vgpr, 8
	.set _ZL25rocblas_symm_scale_kernelILi128ELi8EPKfPfEviiT1_T2_llli.num_agpr, 0
	.set _ZL25rocblas_symm_scale_kernelILi128ELi8EPKfPfEviiT1_T2_llli.numbered_sgpr, 20
	.set _ZL25rocblas_symm_scale_kernelILi128ELi8EPKfPfEviiT1_T2_llli.num_named_barrier, 0
	.set _ZL25rocblas_symm_scale_kernelILi128ELi8EPKfPfEviiT1_T2_llli.private_seg_size, 0
	.set _ZL25rocblas_symm_scale_kernelILi128ELi8EPKfPfEviiT1_T2_llli.uses_vcc, 1
	.set _ZL25rocblas_symm_scale_kernelILi128ELi8EPKfPfEviiT1_T2_llli.uses_flat_scratch, 0
	.set _ZL25rocblas_symm_scale_kernelILi128ELi8EPKfPfEviiT1_T2_llli.has_dyn_sized_stack, 0
	.set _ZL25rocblas_symm_scale_kernelILi128ELi8EPKfPfEviiT1_T2_llli.has_recursion, 0
	.set _ZL25rocblas_symm_scale_kernelILi128ELi8EPKfPfEviiT1_T2_llli.has_indirect_call, 0
	.section	.AMDGPU.csdata,"",@progbits
; Kernel info:
; codeLenInByte = 412
; TotalNumSgprs: 22
; NumVgprs: 8
; ScratchSize: 0
; MemoryBound: 0
; FloatMode: 240
; IeeeMode: 1
; LDSByteSize: 0 bytes/workgroup (compile time only)
; SGPRBlocks: 0
; VGPRBlocks: 0
; NumSGPRsForWavesPerEU: 22
; NumVGPRsForWavesPerEU: 8
; Occupancy: 16
; WaveLimiterHint : 0
; COMPUTE_PGM_RSRC2:SCRATCH_EN: 0
; COMPUTE_PGM_RSRC2:USER_SGPR: 6
; COMPUTE_PGM_RSRC2:TRAP_HANDLER: 0
; COMPUTE_PGM_RSRC2:TGID_X_EN: 1
; COMPUTE_PGM_RSRC2:TGID_Y_EN: 1
; COMPUTE_PGM_RSRC2:TGID_Z_EN: 1
; COMPUTE_PGM_RSRC2:TIDIG_COMP_CNT: 1
	.section	.text._ZL24rocblas_symm_hemm_kernelILb0ELb0ELi32EPKfS1_PfEvbiiT2_T3_lllS4_lllT4_llli,"axG",@progbits,_ZL24rocblas_symm_hemm_kernelILb0ELb0ELi32EPKfS1_PfEvbiiT2_T3_lllS4_lllT4_llli,comdat
	.globl	_ZL24rocblas_symm_hemm_kernelILb0ELb0ELi32EPKfS1_PfEvbiiT2_T3_lllS4_lllT4_llli ; -- Begin function _ZL24rocblas_symm_hemm_kernelILb0ELb0ELi32EPKfS1_PfEvbiiT2_T3_lllS4_lllT4_llli
	.p2align	8
	.type	_ZL24rocblas_symm_hemm_kernelILb0ELb0ELi32EPKfS1_PfEvbiiT2_T3_lllS4_lllT4_llli,@function
_ZL24rocblas_symm_hemm_kernelILb0ELb0ELi32EPKfS1_PfEvbiiT2_T3_lllS4_lllT4_llli: ; @_ZL24rocblas_symm_hemm_kernelILb0ELb0ELi32EPKfS1_PfEvbiiT2_T3_lllS4_lllT4_llli
; %bb.0:
	s_load_dwordx16 s[12:27], s[4:5], 0x10
	s_waitcnt lgkmcnt(0)
	s_load_dword s3, s[12:13], 0x0
	s_waitcnt lgkmcnt(0)
	v_cmp_eq_f32_e64 s0, s3, 0
	s_and_b32 vcc_lo, exec_lo, s0
	s_cbranch_vccnz .LBB1_13
; %bb.1:
	s_load_dwordx4 s[28:31], s[4:5], 0x0
	s_waitcnt lgkmcnt(0)
	s_add_i32 s0, s30, -1
	s_ashr_i32 s1, s0, 31
	s_lshr_b32 s1, s1, 27
	s_add_i32 s0, s0, s1
	s_ashr_i32 s9, s0, 5
	s_cmp_gt_i32 s7, s9
	s_cbranch_scc1 .LBB1_13
; %bb.2:
	s_clause 0x1
	s_load_dwordx8 s[36:43], s[4:5], 0x50
	s_load_dwordx2 s[0:1], s[4:5], 0x70
	s_mul_i32 s2, s21, s8
	s_mul_hi_u32 s11, s20, s8
	s_mul_i32 s10, s20, s8
	s_add_i32 s11, s11, s2
	v_lshl_add_u32 v2, s6, 5, v0
	s_lshl_b64 s[10:11], s[10:11], 2
	s_load_dword s4, s[4:5], 0x84
	s_add_u32 s2, s14, s10
	s_addc_u32 s6, s15, s11
	s_lshl_b64 s[10:11], s[16:17], 2
	v_lshlrev_b32_e32 v7, 7, v0
	s_add_u32 s5, s2, s10
	s_addc_u32 s6, s6, s11
	v_lshlrev_b32_e32 v4, 2, v1
	v_ashrrev_i32_e32 v3, 31, v2
	v_add_nc_u32_e32 v8, v7, v4
	s_waitcnt lgkmcnt(0)
	s_mul_i32 s2, s37, s8
	s_mul_hi_u32 s11, s36, s8
	s_mul_i32 s10, s36, s8
	s_add_i32 s11, s11, s2
	s_mul_i32 s1, s1, s8
	s_lshl_b64 s[10:11], s[10:11], 2
	s_mul_hi_u32 s13, s0, s8
	s_add_u32 s2, s22, s10
	s_addc_u32 s12, s23, s11
	s_lshl_b64 s[10:11], s[24:25], 2
	v_or_b32_e32 v9, 0x1000, v4
	s_add_u32 s10, s2, s10
	s_addc_u32 s11, s12, s11
	s_bitcmp1_b32 s28, 0
	s_mul_i32 s12, s0, s8
	s_cselect_b32 s0, -1, 0
	s_add_i32 s13, s13, s1
	v_lshlrev_b64 v[3:4], 2, v[2:3]
	s_lshl_b64 s[12:13], s[12:13], 2
	v_add_nc_u32_e32 v10, v9, v7
	s_add_u32 s1, s38, s12
	s_addc_u32 s2, s39, s13
	s_lshl_b64 s[12:13], s[40:41], 2
	v_add_nc_u32_e32 v13, 0x400, v9
	s_add_u32 s8, s1, s12
	s_addc_u32 s2, s2, s13
	v_add_co_u32 v11, vcc_lo, s8, v3
	v_cmp_gt_i32_e64 s1, s29, v2
	v_add_co_ci_u32_e64 v12, null, s2, v4, vcc_lo
	v_add_nc_u32_e32 v14, 0x800, v9
	v_add_nc_u32_e32 v15, 0xc00, v9
	s_cmp_gt_i32 s29, 0
	s_cselect_b32 s8, -1, 0
	s_branch .LBB1_4
.LBB1_3:                                ;   in Loop: Header=BB1_4 Depth=1
	s_add_i32 s7, s7, s4
	s_cmp_gt_i32 s7, s9
	s_cbranch_scc1 .LBB1_13
.LBB1_4:                                ; =>This Loop Header: Depth=1
                                        ;     Child Loop BB1_7 Depth 2
	s_andn2_b32 vcc_lo, exec_lo, s8
	s_cbranch_vccnz .LBB1_3
; %bb.5:                                ;   in Loop: Header=BB1_4 Depth=1
	v_lshl_add_u32 v16, s7, 5, v1
	s_mov_b32 s13, 0
	v_ashrrev_i32_e32 v17, 31, v16
	v_mul_lo_u32 v18, s27, v16
	v_mad_u64_u32 v[3:4], null, s26, v16, 0
	v_mul_lo_u32 v20, s43, v16
	v_mul_lo_u32 v19, s26, v17
	v_mad_u64_u32 v[5:6], null, s42, v16, 0
	v_mul_lo_u32 v17, s42, v17
	v_cmp_gt_i32_e32 vcc_lo, s30, v16
	v_add3_u32 v4, v4, v19, v18
	s_and_b32 s12, s1, vcc_lo
	v_add3_u32 v6, v6, v17, v20
	v_lshlrev_b64 v[3:4], 2, v[3:4]
	v_lshlrev_b64 v[5:6], 2, v[5:6]
	v_add_co_u32 v16, s2, s10, v3
	v_add_co_ci_u32_e64 v17, null, s11, v4, s2
	v_add_co_u32 v3, s2, v11, v5
	v_add_co_ci_u32_e64 v4, null, v12, v6, s2
	s_branch .LBB1_7
.LBB1_6:                                ;   in Loop: Header=BB1_7 Depth=2
	s_or_b32 exec_lo, exec_lo, s2
	s_add_i32 s13, s13, 32
	s_waitcnt_vscnt null, 0x0
	s_cmp_ge_i32 s13, s29
	s_barrier
	buffer_gl0_inv
	s_cbranch_scc1 .LBB1_3
.LBB1_7:                                ;   Parent Loop BB1_4 Depth=1
                                        ; =>  This Inner Loop Header: Depth=2
	v_add_nc_u32_e32 v6, s13, v1
	v_cndmask_b32_e64 v5, v6, v2, s0
	v_cndmask_b32_e64 v18, v2, v6, s0
	v_cmp_gt_i32_e64 s2, v5, v18
	v_mov_b32_e32 v18, 0
	v_cndmask_b32_e64 v5, v2, v6, s2
	v_cndmask_b32_e64 v6, v6, v2, s2
	v_max_i32_e32 v19, v5, v6
	v_cmp_gt_i32_e64 s2, s29, v19
	v_mov_b32_e32 v19, 0
	s_and_saveexec_b32 s14, s2
	s_cbranch_execz .LBB1_9
; %bb.8:                                ;   in Loop: Header=BB1_7 Depth=2
	v_ashrrev_i32_e32 v21, 31, v6
	v_mul_lo_u32 v22, s19, v6
	v_mad_u64_u32 v[19:20], null, s18, v6, 0
	v_mul_lo_u32 v6, s18, v21
	v_add3_u32 v20, v20, v6, v22
	v_ashrrev_i32_e32 v6, 31, v5
	v_lshlrev_b64 v[19:20], 2, v[19:20]
	v_lshlrev_b64 v[5:6], 2, v[5:6]
	v_add_co_u32 v19, s2, s5, v19
	v_add_co_ci_u32_e64 v20, null, s6, v20, s2
	v_add_co_u32 v5, s2, v19, v5
	v_add_co_ci_u32_e64 v6, null, v20, v6, s2
	global_load_dword v19, v[5:6], off
.LBB1_9:                                ;   in Loop: Header=BB1_7 Depth=2
	s_or_b32 exec_lo, exec_lo, s14
	v_add_nc_u32_e32 v5, s13, v0
	s_waitcnt vmcnt(0)
	ds_write_b32 v8, v19
	v_cmp_gt_i32_e64 s2, s29, v5
	s_and_b32 s2, s2, vcc_lo
	s_and_saveexec_b32 s14, s2
	s_cbranch_execz .LBB1_11
; %bb.10:                               ;   in Loop: Header=BB1_7 Depth=2
	v_ashrrev_i32_e32 v6, 31, v5
	v_lshlrev_b64 v[5:6], 2, v[5:6]
	v_add_co_u32 v5, s2, v16, v5
	v_add_co_ci_u32_e64 v6, null, v17, v6, s2
	global_load_dword v18, v[5:6], off
.LBB1_11:                               ;   in Loop: Header=BB1_7 Depth=2
	s_or_b32 exec_lo, exec_lo, s14
	s_waitcnt vmcnt(0)
	ds_write_b32 v10, v18
	s_waitcnt lgkmcnt(0)
	s_barrier
	buffer_gl0_inv
	s_and_saveexec_b32 s2, s12
	s_cbranch_execz .LBB1_6
; %bb.12:                               ;   in Loop: Header=BB1_7 Depth=2
	global_load_dword v30, v[3:4], off
	ds_read_b128 v[18:21], v7
	ds_read2_b32 v[5:6], v9 offset1:32
	ds_read2_b32 v[26:27], v9 offset0:64 offset1:96
	ds_read_b128 v[22:25], v7 offset:16
	ds_read2_b32 v[28:29], v9 offset0:128 offset1:160
	s_waitcnt lgkmcnt(3)
	v_fma_f32 v31, v18, v5, 0
	v_fmac_f32_e32 v31, v19, v6
	ds_read2_b32 v[5:6], v9 offset0:192 offset1:224
	s_waitcnt lgkmcnt(3)
	v_fmac_f32_e32 v31, v20, v26
	v_fmac_f32_e32 v31, v21, v27
	ds_read_b128 v[18:21], v7 offset:32
	ds_read2_b32 v[26:27], v13 offset1:32
	s_waitcnt lgkmcnt(3)
	v_fmac_f32_e32 v31, v22, v28
	v_fmac_f32_e32 v31, v23, v29
	ds_read2_b32 v[28:29], v13 offset0:64 offset1:96
	s_waitcnt lgkmcnt(3)
	v_fmac_f32_e32 v31, v24, v5
	v_fmac_f32_e32 v31, v25, v6
	ds_read_b128 v[22:25], v7 offset:48
	ds_read2_b32 v[5:6], v13 offset0:128 offset1:160
	s_waitcnt lgkmcnt(3)
	v_fmac_f32_e32 v31, v18, v26
	v_fmac_f32_e32 v31, v19, v27
	ds_read2_b32 v[26:27], v13 offset0:192 offset1:224
	s_waitcnt lgkmcnt(3)
	v_fmac_f32_e32 v31, v20, v28
	v_fmac_f32_e32 v31, v21, v29
	ds_read_b128 v[18:21], v7 offset:64
	ds_read2_b32 v[28:29], v14 offset1:32
	s_waitcnt lgkmcnt(3)
	v_fmac_f32_e32 v31, v22, v5
	v_fmac_f32_e32 v31, v23, v6
	ds_read2_b32 v[5:6], v14 offset0:64 offset1:96
	s_waitcnt lgkmcnt(3)
	v_fmac_f32_e32 v31, v24, v26
	v_fmac_f32_e32 v31, v25, v27
	ds_read_b128 v[22:25], v7 offset:80
	ds_read2_b32 v[26:27], v14 offset0:128 offset1:160
	s_waitcnt lgkmcnt(3)
	v_fmac_f32_e32 v31, v18, v28
	;; [unrolled: 18-line block ×3, first 2 shown]
	v_fmac_f32_e32 v31, v19, v6
	ds_read2_b32 v[5:6], v15 offset0:192 offset1:224
	s_waitcnt lgkmcnt(3)
	v_fmac_f32_e32 v31, v20, v26
	v_fmac_f32_e32 v31, v21, v27
	s_waitcnt lgkmcnt(1)
	v_fmac_f32_e32 v31, v22, v28
	v_fmac_f32_e32 v31, v23, v29
	s_waitcnt lgkmcnt(0)
	v_fmac_f32_e32 v31, v24, v5
	v_fmac_f32_e32 v31, v25, v6
	s_waitcnt vmcnt(0)
	v_fmac_f32_e32 v30, s3, v31
	global_store_dword v[3:4], v30, off
	s_branch .LBB1_6
.LBB1_13:
	s_endpgm
	.section	.rodata,"a",@progbits
	.p2align	6, 0x0
	.amdhsa_kernel _ZL24rocblas_symm_hemm_kernelILb0ELb0ELi32EPKfS1_PfEvbiiT2_T3_lllS4_lllT4_llli
		.amdhsa_group_segment_fixed_size 8192
		.amdhsa_private_segment_fixed_size 0
		.amdhsa_kernarg_size 384
		.amdhsa_user_sgpr_count 6
		.amdhsa_user_sgpr_private_segment_buffer 1
		.amdhsa_user_sgpr_dispatch_ptr 0
		.amdhsa_user_sgpr_queue_ptr 0
		.amdhsa_user_sgpr_kernarg_segment_ptr 1
		.amdhsa_user_sgpr_dispatch_id 0
		.amdhsa_user_sgpr_flat_scratch_init 0
		.amdhsa_user_sgpr_private_segment_size 0
		.amdhsa_wavefront_size32 1
		.amdhsa_uses_dynamic_stack 0
		.amdhsa_system_sgpr_private_segment_wavefront_offset 0
		.amdhsa_system_sgpr_workgroup_id_x 1
		.amdhsa_system_sgpr_workgroup_id_y 1
		.amdhsa_system_sgpr_workgroup_id_z 1
		.amdhsa_system_sgpr_workgroup_info 0
		.amdhsa_system_vgpr_workitem_id 1
		.amdhsa_next_free_vgpr 32
		.amdhsa_next_free_sgpr 44
		.amdhsa_reserve_vcc 1
		.amdhsa_reserve_flat_scratch 0
		.amdhsa_float_round_mode_32 0
		.amdhsa_float_round_mode_16_64 0
		.amdhsa_float_denorm_mode_32 3
		.amdhsa_float_denorm_mode_16_64 3
		.amdhsa_dx10_clamp 1
		.amdhsa_ieee_mode 1
		.amdhsa_fp16_overflow 0
		.amdhsa_workgroup_processor_mode 1
		.amdhsa_memory_ordered 1
		.amdhsa_forward_progress 1
		.amdhsa_shared_vgpr_count 0
		.amdhsa_exception_fp_ieee_invalid_op 0
		.amdhsa_exception_fp_denorm_src 0
		.amdhsa_exception_fp_ieee_div_zero 0
		.amdhsa_exception_fp_ieee_overflow 0
		.amdhsa_exception_fp_ieee_underflow 0
		.amdhsa_exception_fp_ieee_inexact 0
		.amdhsa_exception_int_div_zero 0
	.end_amdhsa_kernel
	.section	.text._ZL24rocblas_symm_hemm_kernelILb0ELb0ELi32EPKfS1_PfEvbiiT2_T3_lllS4_lllT4_llli,"axG",@progbits,_ZL24rocblas_symm_hemm_kernelILb0ELb0ELi32EPKfS1_PfEvbiiT2_T3_lllS4_lllT4_llli,comdat
.Lfunc_end1:
	.size	_ZL24rocblas_symm_hemm_kernelILb0ELb0ELi32EPKfS1_PfEvbiiT2_T3_lllS4_lllT4_llli, .Lfunc_end1-_ZL24rocblas_symm_hemm_kernelILb0ELb0ELi32EPKfS1_PfEvbiiT2_T3_lllS4_lllT4_llli
                                        ; -- End function
	.set _ZL24rocblas_symm_hemm_kernelILb0ELb0ELi32EPKfS1_PfEvbiiT2_T3_lllS4_lllT4_llli.num_vgpr, 32
	.set _ZL24rocblas_symm_hemm_kernelILb0ELb0ELi32EPKfS1_PfEvbiiT2_T3_lllS4_lllT4_llli.num_agpr, 0
	.set _ZL24rocblas_symm_hemm_kernelILb0ELb0ELi32EPKfS1_PfEvbiiT2_T3_lllS4_lllT4_llli.numbered_sgpr, 44
	.set _ZL24rocblas_symm_hemm_kernelILb0ELb0ELi32EPKfS1_PfEvbiiT2_T3_lllS4_lllT4_llli.num_named_barrier, 0
	.set _ZL24rocblas_symm_hemm_kernelILb0ELb0ELi32EPKfS1_PfEvbiiT2_T3_lllS4_lllT4_llli.private_seg_size, 0
	.set _ZL24rocblas_symm_hemm_kernelILb0ELb0ELi32EPKfS1_PfEvbiiT2_T3_lllS4_lllT4_llli.uses_vcc, 1
	.set _ZL24rocblas_symm_hemm_kernelILb0ELb0ELi32EPKfS1_PfEvbiiT2_T3_lllS4_lllT4_llli.uses_flat_scratch, 0
	.set _ZL24rocblas_symm_hemm_kernelILb0ELb0ELi32EPKfS1_PfEvbiiT2_T3_lllS4_lllT4_llli.has_dyn_sized_stack, 0
	.set _ZL24rocblas_symm_hemm_kernelILb0ELb0ELi32EPKfS1_PfEvbiiT2_T3_lllS4_lllT4_llli.has_recursion, 0
	.set _ZL24rocblas_symm_hemm_kernelILb0ELb0ELi32EPKfS1_PfEvbiiT2_T3_lllS4_lllT4_llli.has_indirect_call, 0
	.section	.AMDGPU.csdata,"",@progbits
; Kernel info:
; codeLenInByte = 1240
; TotalNumSgprs: 46
; NumVgprs: 32
; ScratchSize: 0
; MemoryBound: 0
; FloatMode: 240
; IeeeMode: 1
; LDSByteSize: 8192 bytes/workgroup (compile time only)
; SGPRBlocks: 0
; VGPRBlocks: 3
; NumSGPRsForWavesPerEU: 46
; NumVGPRsForWavesPerEU: 32
; Occupancy: 16
; WaveLimiterHint : 0
; COMPUTE_PGM_RSRC2:SCRATCH_EN: 0
; COMPUTE_PGM_RSRC2:USER_SGPR: 6
; COMPUTE_PGM_RSRC2:TRAP_HANDLER: 0
; COMPUTE_PGM_RSRC2:TGID_X_EN: 1
; COMPUTE_PGM_RSRC2:TGID_Y_EN: 1
; COMPUTE_PGM_RSRC2:TGID_Z_EN: 1
; COMPUTE_PGM_RSRC2:TIDIG_COMP_CNT: 1
	.section	.text._ZL24rocblas_symm_hemm_kernelILb0ELb1ELi32EPKfS1_PfEvbiiT2_T3_lllS4_lllT4_llli,"axG",@progbits,_ZL24rocblas_symm_hemm_kernelILb0ELb1ELi32EPKfS1_PfEvbiiT2_T3_lllS4_lllT4_llli,comdat
	.globl	_ZL24rocblas_symm_hemm_kernelILb0ELb1ELi32EPKfS1_PfEvbiiT2_T3_lllS4_lllT4_llli ; -- Begin function _ZL24rocblas_symm_hemm_kernelILb0ELb1ELi32EPKfS1_PfEvbiiT2_T3_lllS4_lllT4_llli
	.p2align	8
	.type	_ZL24rocblas_symm_hemm_kernelILb0ELb1ELi32EPKfS1_PfEvbiiT2_T3_lllS4_lllT4_llli,@function
_ZL24rocblas_symm_hemm_kernelILb0ELb1ELi32EPKfS1_PfEvbiiT2_T3_lllS4_lllT4_llli: ; @_ZL24rocblas_symm_hemm_kernelILb0ELb1ELi32EPKfS1_PfEvbiiT2_T3_lllS4_lllT4_llli
; %bb.0:
	s_load_dwordx16 s[12:27], s[4:5], 0x10
	s_waitcnt lgkmcnt(0)
	s_load_dword s3, s[12:13], 0x0
	s_waitcnt lgkmcnt(0)
	v_cmp_eq_f32_e64 s0, s3, 0
	s_and_b32 vcc_lo, exec_lo, s0
	s_cbranch_vccnz .LBB2_13
; %bb.1:
	s_load_dwordx4 s[28:31], s[4:5], 0x0
	s_waitcnt lgkmcnt(0)
	s_add_i32 s0, s30, -1
	s_ashr_i32 s1, s0, 31
	s_lshr_b32 s1, s1, 27
	s_add_i32 s0, s0, s1
	s_ashr_i32 s9, s0, 5
	s_cmp_gt_i32 s7, s9
	s_cbranch_scc1 .LBB2_13
; %bb.2:
	s_clause 0x1
	s_load_dwordx2 s[12:13], s[4:5], 0x70
	s_load_dwordx8 s[36:43], s[4:5], 0x50
	s_mul_i32 s1, s21, s8
	s_mul_hi_u32 s2, s20, s8
	s_mul_i32 s0, s20, s8
	s_add_i32 s1, s2, s1
	v_lshl_add_u32 v2, s6, 5, v0
	s_lshl_b64 s[0:1], s[0:1], 2
	s_load_dword s4, s[4:5], 0x84
	s_add_u32 s2, s14, s0
	s_addc_u32 s10, s15, s1
	s_lshl_b64 s[0:1], s[16:17], 2
	v_ashrrev_i32_e32 v3, 31, v2
	s_add_u32 s6, s2, s0
	s_addc_u32 s10, s10, s1
	s_bitcmp1_b32 s28, 0
	v_lshlrev_b32_e32 v5, 2, v1
	s_cselect_b32 s0, -1, 0
	v_lshlrev_b64 v[3:4], 2, v[2:3]
	v_lshlrev_b32_e32 v6, 7, v0
	s_waitcnt lgkmcnt(0)
	s_mul_i32 s1, s13, s8
	s_mul_hi_u32 s2, s12, s8
	s_mul_i32 s12, s12, s8
	s_add_i32 s13, s2, s1
	s_mul_i32 s1, s37, s8
	s_lshl_b64 s[12:13], s[12:13], 2
	s_mul_hi_u32 s2, s36, s8
	s_add_u32 s5, s38, s12
	s_addc_u32 s11, s39, s13
	s_lshl_b64 s[12:13], s[40:41], 2
	s_mul_i32 s14, s36, s8
	s_add_u32 s5, s5, s12
	s_addc_u32 s8, s11, s13
	s_add_i32 s15, s2, s1
	v_or_b32_e32 v7, 0x1000, v5
	s_lshl_b64 s[12:13], s[14:15], 2
	v_add_nc_u32_e32 v10, v6, v5
	s_add_u32 s1, s22, s12
	s_addc_u32 s2, s23, s13
	s_lshl_b64 s[12:13], s[24:25], 2
	v_add_nc_u32_e32 v11, v7, v6
	s_add_u32 s11, s1, s12
	s_addc_u32 s2, s2, s13
	v_add_co_u32 v8, vcc_lo, s11, v3
	v_add_co_ci_u32_e64 v9, null, s2, v4, vcc_lo
	v_add_co_u32 v12, vcc_lo, s5, v3
	v_cmp_gt_i32_e64 s1, s29, v2
	v_add_co_ci_u32_e64 v13, null, s8, v4, vcc_lo
	v_add_nc_u32_e32 v14, 0x400, v7
	v_add_nc_u32_e32 v15, 0x800, v7
	;; [unrolled: 1-line block ×3, first 2 shown]
	s_cmp_gt_i32 s30, 0
	s_cselect_b32 s5, -1, 0
	s_branch .LBB2_4
.LBB2_3:                                ;   in Loop: Header=BB2_4 Depth=1
	s_add_i32 s7, s7, s4
	s_cmp_gt_i32 s7, s9
	s_cbranch_scc1 .LBB2_13
.LBB2_4:                                ; =>This Loop Header: Depth=1
                                        ;     Child Loop BB2_7 Depth 2
	s_andn2_b32 vcc_lo, exec_lo, s5
	s_cbranch_vccnz .LBB2_3
; %bb.5:                                ;   in Loop: Header=BB2_4 Depth=1
	v_lshl_add_u32 v17, s7, 5, v1
	s_mov_b32 s8, 0
	v_ashrrev_i32_e32 v4, 31, v17
	v_mul_lo_u32 v5, s43, v17
	v_mad_u64_u32 v[2:3], null, s42, v17, 0
	v_cmp_gt_i32_e32 vcc_lo, s30, v17
	v_mul_lo_u32 v4, s42, v4
	v_add3_u32 v3, v3, v4, v5
	v_lshlrev_b64 v[2:3], 2, v[2:3]
	v_add_co_u32 v2, s2, v12, v2
	v_add_co_ci_u32_e64 v3, null, v13, v3, s2
	s_and_b32 s2, s1, vcc_lo
	s_branch .LBB2_7
.LBB2_6:                                ;   in Loop: Header=BB2_7 Depth=2
	s_or_b32 exec_lo, exec_lo, s11
	s_add_i32 s8, s8, 32
	s_waitcnt_vscnt null, 0x0
	s_cmp_ge_i32 s8, s30
	s_barrier
	buffer_gl0_inv
	s_cbranch_scc1 .LBB2_3
.LBB2_7:                                ;   Parent Loop BB2_4 Depth=1
                                        ; =>  This Inner Loop Header: Depth=2
	v_add_nc_u32_e32 v4, s8, v1
	v_mov_b32_e32 v5, 0
	v_mov_b32_e32 v18, 0
	v_cmp_gt_i32_e32 vcc_lo, s30, v4
	s_and_b32 s12, s1, vcc_lo
	s_and_saveexec_b32 s11, s12
	s_cbranch_execz .LBB2_9
; %bb.8:                                ;   in Loop: Header=BB2_7 Depth=2
	v_ashrrev_i32_e32 v20, 31, v4
	v_mul_lo_u32 v21, s27, v4
	v_mad_u64_u32 v[18:19], null, s26, v4, 0
	v_mul_lo_u32 v4, s26, v20
	v_add3_u32 v19, v19, v4, v21
	v_lshlrev_b64 v[18:19], 2, v[18:19]
	v_add_co_u32 v18, vcc_lo, v8, v18
	v_add_co_ci_u32_e64 v19, null, v9, v19, vcc_lo
	global_load_dword v18, v[18:19], off
.LBB2_9:                                ;   in Loop: Header=BB2_7 Depth=2
	s_or_b32 exec_lo, exec_lo, s11
	v_add_nc_u32_e32 v19, s8, v0
	s_mov_b32 s11, exec_lo
	s_waitcnt vmcnt(0)
	ds_write_b32 v10, v18
	v_cndmask_b32_e64 v4, v17, v19, s0
	v_cndmask_b32_e64 v20, v19, v17, s0
	v_cmp_gt_i32_e32 vcc_lo, v4, v20
	v_cndmask_b32_e32 v4, v19, v17, vcc_lo
	v_cndmask_b32_e32 v19, v17, v19, vcc_lo
	v_max_i32_e32 v20, v4, v19
	v_cmpx_gt_i32_e64 s30, v20
	s_cbranch_execz .LBB2_11
; %bb.10:                               ;   in Loop: Header=BB2_7 Depth=2
	v_ashrrev_i32_e32 v5, 31, v19
	v_mul_lo_u32 v20, s19, v19
	v_mad_u64_u32 v[18:19], null, s18, v19, 0
	v_mul_lo_u32 v5, s18, v5
	v_add3_u32 v19, v19, v5, v20
	v_ashrrev_i32_e32 v5, 31, v4
	v_lshlrev_b64 v[18:19], 2, v[18:19]
	v_lshlrev_b64 v[4:5], 2, v[4:5]
	v_add_co_u32 v18, vcc_lo, s6, v18
	v_add_co_ci_u32_e64 v19, null, s10, v19, vcc_lo
	v_add_co_u32 v4, vcc_lo, v18, v4
	v_add_co_ci_u32_e64 v5, null, v19, v5, vcc_lo
	global_load_dword v5, v[4:5], off
.LBB2_11:                               ;   in Loop: Header=BB2_7 Depth=2
	s_or_b32 exec_lo, exec_lo, s11
	s_waitcnt vmcnt(0)
	ds_write_b32 v11, v5
	s_waitcnt lgkmcnt(0)
	s_barrier
	buffer_gl0_inv
	s_and_saveexec_b32 s11, s2
	s_cbranch_execz .LBB2_6
; %bb.12:                               ;   in Loop: Header=BB2_7 Depth=2
	global_load_dword v30, v[2:3], off
	ds_read_b128 v[18:21], v6
	ds_read2_b32 v[4:5], v7 offset1:32
	ds_read2_b32 v[26:27], v7 offset0:64 offset1:96
	ds_read_b128 v[22:25], v6 offset:16
	ds_read2_b32 v[28:29], v7 offset0:128 offset1:160
	s_waitcnt lgkmcnt(3)
	v_fma_f32 v31, v18, v4, 0
	v_fmac_f32_e32 v31, v19, v5
	ds_read2_b32 v[4:5], v7 offset0:192 offset1:224
	s_waitcnt lgkmcnt(3)
	v_fmac_f32_e32 v31, v20, v26
	v_fmac_f32_e32 v31, v21, v27
	ds_read_b128 v[18:21], v6 offset:32
	ds_read2_b32 v[26:27], v14 offset1:32
	s_waitcnt lgkmcnt(3)
	v_fmac_f32_e32 v31, v22, v28
	v_fmac_f32_e32 v31, v23, v29
	ds_read2_b32 v[28:29], v14 offset0:64 offset1:96
	s_waitcnt lgkmcnt(3)
	v_fmac_f32_e32 v31, v24, v4
	v_fmac_f32_e32 v31, v25, v5
	ds_read_b128 v[22:25], v6 offset:48
	ds_read2_b32 v[4:5], v14 offset0:128 offset1:160
	s_waitcnt lgkmcnt(3)
	v_fmac_f32_e32 v31, v18, v26
	v_fmac_f32_e32 v31, v19, v27
	ds_read2_b32 v[26:27], v14 offset0:192 offset1:224
	s_waitcnt lgkmcnt(3)
	v_fmac_f32_e32 v31, v20, v28
	v_fmac_f32_e32 v31, v21, v29
	ds_read_b128 v[18:21], v6 offset:64
	ds_read2_b32 v[28:29], v15 offset1:32
	s_waitcnt lgkmcnt(3)
	v_fmac_f32_e32 v31, v22, v4
	v_fmac_f32_e32 v31, v23, v5
	ds_read2_b32 v[4:5], v15 offset0:64 offset1:96
	s_waitcnt lgkmcnt(3)
	v_fmac_f32_e32 v31, v24, v26
	v_fmac_f32_e32 v31, v25, v27
	ds_read_b128 v[22:25], v6 offset:80
	ds_read2_b32 v[26:27], v15 offset0:128 offset1:160
	s_waitcnt lgkmcnt(3)
	v_fmac_f32_e32 v31, v18, v28
	;; [unrolled: 18-line block ×3, first 2 shown]
	v_fmac_f32_e32 v31, v19, v5
	ds_read2_b32 v[4:5], v16 offset0:192 offset1:224
	s_waitcnt lgkmcnt(3)
	v_fmac_f32_e32 v31, v20, v26
	v_fmac_f32_e32 v31, v21, v27
	s_waitcnt lgkmcnt(1)
	v_fmac_f32_e32 v31, v22, v28
	v_fmac_f32_e32 v31, v23, v29
	;; [unrolled: 3-line block ×3, first 2 shown]
	s_waitcnt vmcnt(0)
	v_fmac_f32_e32 v30, s3, v31
	global_store_dword v[2:3], v30, off
	s_branch .LBB2_6
.LBB2_13:
	s_endpgm
	.section	.rodata,"a",@progbits
	.p2align	6, 0x0
	.amdhsa_kernel _ZL24rocblas_symm_hemm_kernelILb0ELb1ELi32EPKfS1_PfEvbiiT2_T3_lllS4_lllT4_llli
		.amdhsa_group_segment_fixed_size 8192
		.amdhsa_private_segment_fixed_size 0
		.amdhsa_kernarg_size 384
		.amdhsa_user_sgpr_count 6
		.amdhsa_user_sgpr_private_segment_buffer 1
		.amdhsa_user_sgpr_dispatch_ptr 0
		.amdhsa_user_sgpr_queue_ptr 0
		.amdhsa_user_sgpr_kernarg_segment_ptr 1
		.amdhsa_user_sgpr_dispatch_id 0
		.amdhsa_user_sgpr_flat_scratch_init 0
		.amdhsa_user_sgpr_private_segment_size 0
		.amdhsa_wavefront_size32 1
		.amdhsa_uses_dynamic_stack 0
		.amdhsa_system_sgpr_private_segment_wavefront_offset 0
		.amdhsa_system_sgpr_workgroup_id_x 1
		.amdhsa_system_sgpr_workgroup_id_y 1
		.amdhsa_system_sgpr_workgroup_id_z 1
		.amdhsa_system_sgpr_workgroup_info 0
		.amdhsa_system_vgpr_workitem_id 1
		.amdhsa_next_free_vgpr 32
		.amdhsa_next_free_sgpr 44
		.amdhsa_reserve_vcc 1
		.amdhsa_reserve_flat_scratch 0
		.amdhsa_float_round_mode_32 0
		.amdhsa_float_round_mode_16_64 0
		.amdhsa_float_denorm_mode_32 3
		.amdhsa_float_denorm_mode_16_64 3
		.amdhsa_dx10_clamp 1
		.amdhsa_ieee_mode 1
		.amdhsa_fp16_overflow 0
		.amdhsa_workgroup_processor_mode 1
		.amdhsa_memory_ordered 1
		.amdhsa_forward_progress 1
		.amdhsa_shared_vgpr_count 0
		.amdhsa_exception_fp_ieee_invalid_op 0
		.amdhsa_exception_fp_denorm_src 0
		.amdhsa_exception_fp_ieee_div_zero 0
		.amdhsa_exception_fp_ieee_overflow 0
		.amdhsa_exception_fp_ieee_underflow 0
		.amdhsa_exception_fp_ieee_inexact 0
		.amdhsa_exception_int_div_zero 0
	.end_amdhsa_kernel
	.section	.text._ZL24rocblas_symm_hemm_kernelILb0ELb1ELi32EPKfS1_PfEvbiiT2_T3_lllS4_lllT4_llli,"axG",@progbits,_ZL24rocblas_symm_hemm_kernelILb0ELb1ELi32EPKfS1_PfEvbiiT2_T3_lllS4_lllT4_llli,comdat
.Lfunc_end2:
	.size	_ZL24rocblas_symm_hemm_kernelILb0ELb1ELi32EPKfS1_PfEvbiiT2_T3_lllS4_lllT4_llli, .Lfunc_end2-_ZL24rocblas_symm_hemm_kernelILb0ELb1ELi32EPKfS1_PfEvbiiT2_T3_lllS4_lllT4_llli
                                        ; -- End function
	.set _ZL24rocblas_symm_hemm_kernelILb0ELb1ELi32EPKfS1_PfEvbiiT2_T3_lllS4_lllT4_llli.num_vgpr, 32
	.set _ZL24rocblas_symm_hemm_kernelILb0ELb1ELi32EPKfS1_PfEvbiiT2_T3_lllS4_lllT4_llli.num_agpr, 0
	.set _ZL24rocblas_symm_hemm_kernelILb0ELb1ELi32EPKfS1_PfEvbiiT2_T3_lllS4_lllT4_llli.numbered_sgpr, 44
	.set _ZL24rocblas_symm_hemm_kernelILb0ELb1ELi32EPKfS1_PfEvbiiT2_T3_lllS4_lllT4_llli.num_named_barrier, 0
	.set _ZL24rocblas_symm_hemm_kernelILb0ELb1ELi32EPKfS1_PfEvbiiT2_T3_lllS4_lllT4_llli.private_seg_size, 0
	.set _ZL24rocblas_symm_hemm_kernelILb0ELb1ELi32EPKfS1_PfEvbiiT2_T3_lllS4_lllT4_llli.uses_vcc, 1
	.set _ZL24rocblas_symm_hemm_kernelILb0ELb1ELi32EPKfS1_PfEvbiiT2_T3_lllS4_lllT4_llli.uses_flat_scratch, 0
	.set _ZL24rocblas_symm_hemm_kernelILb0ELb1ELi32EPKfS1_PfEvbiiT2_T3_lllS4_lllT4_llli.has_dyn_sized_stack, 0
	.set _ZL24rocblas_symm_hemm_kernelILb0ELb1ELi32EPKfS1_PfEvbiiT2_T3_lllS4_lllT4_llli.has_recursion, 0
	.set _ZL24rocblas_symm_hemm_kernelILb0ELb1ELi32EPKfS1_PfEvbiiT2_T3_lllS4_lllT4_llli.has_indirect_call, 0
	.section	.AMDGPU.csdata,"",@progbits
; Kernel info:
; codeLenInByte = 1216
; TotalNumSgprs: 46
; NumVgprs: 32
; ScratchSize: 0
; MemoryBound: 0
; FloatMode: 240
; IeeeMode: 1
; LDSByteSize: 8192 bytes/workgroup (compile time only)
; SGPRBlocks: 0
; VGPRBlocks: 3
; NumSGPRsForWavesPerEU: 46
; NumVGPRsForWavesPerEU: 32
; Occupancy: 16
; WaveLimiterHint : 0
; COMPUTE_PGM_RSRC2:SCRATCH_EN: 0
; COMPUTE_PGM_RSRC2:USER_SGPR: 6
; COMPUTE_PGM_RSRC2:TRAP_HANDLER: 0
; COMPUTE_PGM_RSRC2:TGID_X_EN: 1
; COMPUTE_PGM_RSRC2:TGID_Y_EN: 1
; COMPUTE_PGM_RSRC2:TGID_Z_EN: 1
; COMPUTE_PGM_RSRC2:TIDIG_COMP_CNT: 1
	.section	.text._ZL25rocblas_symm_scale_kernelILi128ELi8EfPfEviiT1_T2_llli,"axG",@progbits,_ZL25rocblas_symm_scale_kernelILi128ELi8EfPfEviiT1_T2_llli,comdat
	.globl	_ZL25rocblas_symm_scale_kernelILi128ELi8EfPfEviiT1_T2_llli ; -- Begin function _ZL25rocblas_symm_scale_kernelILi128ELi8EfPfEviiT1_T2_llli
	.p2align	8
	.type	_ZL25rocblas_symm_scale_kernelILi128ELi8EfPfEviiT1_T2_llli,@function
_ZL25rocblas_symm_scale_kernelILi128ELi8EfPfEviiT1_T2_llli: ; @_ZL25rocblas_symm_scale_kernelILi128ELi8EfPfEviiT1_T2_llli
; %bb.0:
	s_load_dwordx4 s[0:3], s[4:5], 0x0
	s_waitcnt lgkmcnt(0)
	v_cmp_eq_f32_e64 s3, s2, 1.0
	s_and_b32 vcc_lo, exec_lo, s3
	s_cbranch_vccnz .LBB3_7
; %bb.1:
	v_lshl_add_u32 v1, s7, 3, v1
	v_mov_b32_e32 v2, 0
	v_lshl_add_u32 v3, s6, 7, v0
	s_ashr_i32 s7, s1, 31
	s_mov_b32 s6, s1
	v_cmp_gt_i64_e32 vcc_lo, s[6:7], v[1:2]
	v_cmp_gt_u32_e64 s0, s0, v3
	s_and_b32 s0, s0, vcc_lo
	s_and_saveexec_b32 s1, s0
	s_cbranch_execz .LBB3_7
; %bb.2:
	s_clause 0x1
	s_load_dwordx8 s[12:19], s[4:5], 0x10
	s_load_dword s0, s[4:5], 0x3c
	v_mov_b32_e32 v4, v2
	v_lshlrev_b64 v[3:4], 2, v[3:4]
	s_waitcnt lgkmcnt(0)
	v_mad_u64_u32 v[5:6], null, s16, v1, 0
	s_lshl_b32 s1, s0, 3
	s_mul_i32 s0, s19, s8
	s_mul_hi_u32 s3, s18, s8
	s_mul_i32 s4, s18, s8
	s_add_i32 s5, s3, s0
	s_lshl_b64 s[8:9], s[14:15], 2
	v_mov_b32_e32 v0, v6
	s_lshl_b64 s[4:5], s[4:5], 2
	s_mul_i32 s0, s17, s1
	s_add_u32 s3, s8, s4
	s_addc_u32 s4, s9, s5
	v_mad_u64_u32 v[6:7], null, s17, v1, v[0:1]
	s_mov_b32 s8, 0
	v_lshlrev_b64 v[5:6], 2, v[5:6]
	v_add_co_u32 v0, vcc_lo, s3, v5
	v_add_co_ci_u32_e64 v5, null, s4, v6, vcc_lo
	s_mul_hi_u32 s3, s16, s1
	v_add_co_u32 v0, vcc_lo, v0, v3
	v_add_co_ci_u32_e64 v4, null, v5, v4, vcc_lo
	s_add_i32 s5, s3, s0
	v_add_co_u32 v3, vcc_lo, s12, v0
	v_add_co_ci_u32_e64 v4, null, s13, v4, vcc_lo
	v_cmp_neq_f32_e64 s3, s2, 0
	s_mul_i32 s4, s16, s1
	s_lshl_b64 s[4:5], s[4:5], 2
	s_branch .LBB3_5
	.p2align	6
.LBB3_3:                                ;   in Loop: Header=BB3_5 Depth=1
	global_load_dword v0, v[3:4], off
	s_waitcnt vmcnt(0)
	v_mul_f32_e32 v0, s2, v0
.LBB3_4:                                ;   in Loop: Header=BB3_5 Depth=1
	v_add_co_u32 v1, vcc_lo, v1, s1
	v_add_co_ci_u32_e64 v2, null, 0, v2, vcc_lo
	global_store_dword v[3:4], v0, off
	v_add_co_u32 v3, s0, v3, s4
	v_cmp_le_i64_e32 vcc_lo, s[6:7], v[1:2]
	v_add_co_ci_u32_e64 v4, null, s5, v4, s0
	s_or_b32 s8, vcc_lo, s8
	s_andn2_b32 exec_lo, exec_lo, s8
	s_cbranch_execz .LBB3_7
.LBB3_5:                                ; =>This Inner Loop Header: Depth=1
	s_andn2_b32 vcc_lo, exec_lo, s3
	s_cbranch_vccz .LBB3_3
; %bb.6:                                ;   in Loop: Header=BB3_5 Depth=1
	v_mov_b32_e32 v0, 0
	s_branch .LBB3_4
.LBB3_7:
	s_endpgm
	.section	.rodata,"a",@progbits
	.p2align	6, 0x0
	.amdhsa_kernel _ZL25rocblas_symm_scale_kernelILi128ELi8EfPfEviiT1_T2_llli
		.amdhsa_group_segment_fixed_size 0
		.amdhsa_private_segment_fixed_size 0
		.amdhsa_kernarg_size 312
		.amdhsa_user_sgpr_count 6
		.amdhsa_user_sgpr_private_segment_buffer 1
		.amdhsa_user_sgpr_dispatch_ptr 0
		.amdhsa_user_sgpr_queue_ptr 0
		.amdhsa_user_sgpr_kernarg_segment_ptr 1
		.amdhsa_user_sgpr_dispatch_id 0
		.amdhsa_user_sgpr_flat_scratch_init 0
		.amdhsa_user_sgpr_private_segment_size 0
		.amdhsa_wavefront_size32 1
		.amdhsa_uses_dynamic_stack 0
		.amdhsa_system_sgpr_private_segment_wavefront_offset 0
		.amdhsa_system_sgpr_workgroup_id_x 1
		.amdhsa_system_sgpr_workgroup_id_y 1
		.amdhsa_system_sgpr_workgroup_id_z 1
		.amdhsa_system_sgpr_workgroup_info 0
		.amdhsa_system_vgpr_workitem_id 1
		.amdhsa_next_free_vgpr 8
		.amdhsa_next_free_sgpr 20
		.amdhsa_reserve_vcc 1
		.amdhsa_reserve_flat_scratch 0
		.amdhsa_float_round_mode_32 0
		.amdhsa_float_round_mode_16_64 0
		.amdhsa_float_denorm_mode_32 3
		.amdhsa_float_denorm_mode_16_64 3
		.amdhsa_dx10_clamp 1
		.amdhsa_ieee_mode 1
		.amdhsa_fp16_overflow 0
		.amdhsa_workgroup_processor_mode 1
		.amdhsa_memory_ordered 1
		.amdhsa_forward_progress 1
		.amdhsa_shared_vgpr_count 0
		.amdhsa_exception_fp_ieee_invalid_op 0
		.amdhsa_exception_fp_denorm_src 0
		.amdhsa_exception_fp_ieee_div_zero 0
		.amdhsa_exception_fp_ieee_overflow 0
		.amdhsa_exception_fp_ieee_underflow 0
		.amdhsa_exception_fp_ieee_inexact 0
		.amdhsa_exception_int_div_zero 0
	.end_amdhsa_kernel
	.section	.text._ZL25rocblas_symm_scale_kernelILi128ELi8EfPfEviiT1_T2_llli,"axG",@progbits,_ZL25rocblas_symm_scale_kernelILi128ELi8EfPfEviiT1_T2_llli,comdat
.Lfunc_end3:
	.size	_ZL25rocblas_symm_scale_kernelILi128ELi8EfPfEviiT1_T2_llli, .Lfunc_end3-_ZL25rocblas_symm_scale_kernelILi128ELi8EfPfEviiT1_T2_llli
                                        ; -- End function
	.set _ZL25rocblas_symm_scale_kernelILi128ELi8EfPfEviiT1_T2_llli.num_vgpr, 8
	.set _ZL25rocblas_symm_scale_kernelILi128ELi8EfPfEviiT1_T2_llli.num_agpr, 0
	.set _ZL25rocblas_symm_scale_kernelILi128ELi8EfPfEviiT1_T2_llli.numbered_sgpr, 20
	.set _ZL25rocblas_symm_scale_kernelILi128ELi8EfPfEviiT1_T2_llli.num_named_barrier, 0
	.set _ZL25rocblas_symm_scale_kernelILi128ELi8EfPfEviiT1_T2_llli.private_seg_size, 0
	.set _ZL25rocblas_symm_scale_kernelILi128ELi8EfPfEviiT1_T2_llli.uses_vcc, 1
	.set _ZL25rocblas_symm_scale_kernelILi128ELi8EfPfEviiT1_T2_llli.uses_flat_scratch, 0
	.set _ZL25rocblas_symm_scale_kernelILi128ELi8EfPfEviiT1_T2_llli.has_dyn_sized_stack, 0
	.set _ZL25rocblas_symm_scale_kernelILi128ELi8EfPfEviiT1_T2_llli.has_recursion, 0
	.set _ZL25rocblas_symm_scale_kernelILi128ELi8EfPfEviiT1_T2_llli.has_indirect_call, 0
	.section	.AMDGPU.csdata,"",@progbits
; Kernel info:
; codeLenInByte = 412
; TotalNumSgprs: 22
; NumVgprs: 8
; ScratchSize: 0
; MemoryBound: 0
; FloatMode: 240
; IeeeMode: 1
; LDSByteSize: 0 bytes/workgroup (compile time only)
; SGPRBlocks: 0
; VGPRBlocks: 0
; NumSGPRsForWavesPerEU: 22
; NumVGPRsForWavesPerEU: 8
; Occupancy: 16
; WaveLimiterHint : 0
; COMPUTE_PGM_RSRC2:SCRATCH_EN: 0
; COMPUTE_PGM_RSRC2:USER_SGPR: 6
; COMPUTE_PGM_RSRC2:TRAP_HANDLER: 0
; COMPUTE_PGM_RSRC2:TGID_X_EN: 1
; COMPUTE_PGM_RSRC2:TGID_Y_EN: 1
; COMPUTE_PGM_RSRC2:TGID_Z_EN: 1
; COMPUTE_PGM_RSRC2:TIDIG_COMP_CNT: 1
	.section	.text._ZL24rocblas_symm_hemm_kernelILb0ELb0ELi32EfPKfPfEvbiiT2_T3_lllS4_lllT4_llli,"axG",@progbits,_ZL24rocblas_symm_hemm_kernelILb0ELb0ELi32EfPKfPfEvbiiT2_T3_lllS4_lllT4_llli,comdat
	.globl	_ZL24rocblas_symm_hemm_kernelILb0ELb0ELi32EfPKfPfEvbiiT2_T3_lllS4_lllT4_llli ; -- Begin function _ZL24rocblas_symm_hemm_kernelILb0ELb0ELi32EfPKfPfEvbiiT2_T3_lllS4_lllT4_llli
	.p2align	8
	.type	_ZL24rocblas_symm_hemm_kernelILb0ELb0ELi32EfPKfPfEvbiiT2_T3_lllS4_lllT4_llli,@function
_ZL24rocblas_symm_hemm_kernelILb0ELb0ELi32EfPKfPfEvbiiT2_T3_lllS4_lllT4_llli: ; @_ZL24rocblas_symm_hemm_kernelILb0ELb0ELi32EfPKfPfEvbiiT2_T3_lllS4_lllT4_llli
; %bb.0:
	s_load_dwordx4 s[28:31], s[4:5], 0x0
	s_waitcnt lgkmcnt(0)
	v_cmp_eq_f32_e64 s0, s31, 0
	s_and_b32 vcc_lo, exec_lo, s0
	s_cbranch_vccnz .LBB4_13
; %bb.1:
	s_add_i32 s0, s30, -1
	s_ashr_i32 s1, s0, 31
	s_lshr_b32 s1, s1, 27
	s_add_i32 s0, s0, s1
	s_ashr_i32 s3, s0, 5
	s_cmp_gt_i32 s7, s3
	s_cbranch_scc1 .LBB4_13
; %bb.2:
	s_clause 0x2
	s_load_dwordx16 s[12:27], s[4:5], 0x10
	s_load_dwordx8 s[36:43], s[4:5], 0x50
	s_load_dword s4, s[4:5], 0x7c
	v_lshl_add_u32 v2, s6, 5, v0
	v_lshlrev_b32_e32 v7, 7, v0
	v_lshlrev_b32_e32 v3, 2, v1
	v_cmp_gt_i32_e64 s0, s29, v2
	v_add_nc_u32_e32 v8, v7, v3
	v_or_b32_e32 v9, 0x1000, v3
	v_ashrrev_i32_e32 v3, 31, v2
	v_add_nc_u32_e32 v10, v9, v7
	v_lshlrev_b64 v[3:4], 2, v[2:3]
	v_add_nc_u32_e32 v11, 0x400, v9
	v_add_nc_u32_e32 v12, 0x800, v9
	;; [unrolled: 1-line block ×3, first 2 shown]
	s_waitcnt lgkmcnt(0)
	s_mul_i32 s1, s19, s8
	s_mul_hi_u32 s2, s18, s8
	s_mul_i32 s10, s18, s8
	s_add_i32 s11, s2, s1
	s_mul_i32 s1, s27, s8
	s_lshl_b64 s[10:11], s[10:11], 2
	s_mul_hi_u32 s2, s26, s8
	s_add_u32 s5, s12, s10
	s_addc_u32 s6, s13, s11
	s_lshl_b64 s[10:11], s[14:15], 2
	s_mul_i32 s12, s26, s8
	s_add_u32 s5, s5, s10
	s_addc_u32 s6, s6, s11
	s_add_i32 s13, s2, s1
	s_mul_i32 s2, s43, s8
	s_lshl_b64 s[10:11], s[12:13], 2
	s_mul_hi_u32 s13, s42, s8
	s_add_u32 s1, s20, s10
	s_addc_u32 s12, s21, s11
	s_lshl_b64 s[10:11], s[22:23], 2
	s_add_u32 s9, s1, s10
	s_addc_u32 s10, s12, s11
	s_bitcmp1_b32 s28, 0
	s_mul_i32 s12, s42, s8
	s_cselect_b32 s1, -1, 0
	s_add_i32 s13, s13, s2
	s_lshl_b64 s[12:13], s[12:13], 2
	s_add_u32 s2, s36, s12
	s_addc_u32 s8, s37, s13
	s_lshl_b64 s[12:13], s[38:39], 2
	s_add_u32 s2, s2, s12
	s_addc_u32 s8, s8, s13
	v_add_co_u32 v13, vcc_lo, s2, v3
	v_add_co_ci_u32_e64 v14, null, s8, v4, vcc_lo
	s_cmp_gt_i32 s29, 0
	s_cselect_b32 s8, -1, 0
	s_branch .LBB4_4
.LBB4_3:                                ;   in Loop: Header=BB4_4 Depth=1
	s_add_i32 s7, s7, s4
	s_cmp_gt_i32 s7, s3
	s_cbranch_scc1 .LBB4_13
.LBB4_4:                                ; =>This Loop Header: Depth=1
                                        ;     Child Loop BB4_7 Depth 2
	s_andn2_b32 vcc_lo, exec_lo, s8
	s_cbranch_vccnz .LBB4_3
; %bb.5:                                ;   in Loop: Header=BB4_4 Depth=1
	v_lshl_add_u32 v16, s7, 5, v1
	s_mov_b32 s12, 0
	v_ashrrev_i32_e32 v17, 31, v16
	v_mul_lo_u32 v18, s25, v16
	v_mad_u64_u32 v[3:4], null, s24, v16, 0
	v_mul_lo_u32 v20, s41, v16
	v_mul_lo_u32 v19, s24, v17
	v_mad_u64_u32 v[5:6], null, s40, v16, 0
	v_mul_lo_u32 v17, s40, v17
	v_cmp_gt_i32_e32 vcc_lo, s30, v16
	v_add3_u32 v4, v4, v19, v18
	s_and_b32 s11, s0, vcc_lo
	v_add3_u32 v6, v6, v17, v20
	v_lshlrev_b64 v[3:4], 2, v[3:4]
	v_lshlrev_b64 v[5:6], 2, v[5:6]
	v_add_co_u32 v16, s2, s9, v3
	v_add_co_ci_u32_e64 v17, null, s10, v4, s2
	v_add_co_u32 v3, s2, v13, v5
	v_add_co_ci_u32_e64 v4, null, v14, v6, s2
	s_branch .LBB4_7
.LBB4_6:                                ;   in Loop: Header=BB4_7 Depth=2
	s_or_b32 exec_lo, exec_lo, s2
	s_add_i32 s12, s12, 32
	s_waitcnt_vscnt null, 0x0
	s_cmp_ge_i32 s12, s29
	s_barrier
	buffer_gl0_inv
	s_cbranch_scc1 .LBB4_3
.LBB4_7:                                ;   Parent Loop BB4_4 Depth=1
                                        ; =>  This Inner Loop Header: Depth=2
	v_add_nc_u32_e32 v6, s12, v1
	v_cndmask_b32_e64 v5, v6, v2, s1
	v_cndmask_b32_e64 v18, v2, v6, s1
	v_cmp_gt_i32_e64 s2, v5, v18
	v_mov_b32_e32 v18, 0
	v_cndmask_b32_e64 v5, v2, v6, s2
	v_cndmask_b32_e64 v6, v6, v2, s2
	v_max_i32_e32 v19, v5, v6
	v_cmp_gt_i32_e64 s2, s29, v19
	v_mov_b32_e32 v19, 0
	s_and_saveexec_b32 s13, s2
	s_cbranch_execz .LBB4_9
; %bb.8:                                ;   in Loop: Header=BB4_7 Depth=2
	v_ashrrev_i32_e32 v21, 31, v6
	v_mul_lo_u32 v22, s17, v6
	v_mad_u64_u32 v[19:20], null, s16, v6, 0
	v_mul_lo_u32 v6, s16, v21
	v_add3_u32 v20, v20, v6, v22
	v_ashrrev_i32_e32 v6, 31, v5
	v_lshlrev_b64 v[19:20], 2, v[19:20]
	v_lshlrev_b64 v[5:6], 2, v[5:6]
	v_add_co_u32 v19, s2, s5, v19
	v_add_co_ci_u32_e64 v20, null, s6, v20, s2
	v_add_co_u32 v5, s2, v19, v5
	v_add_co_ci_u32_e64 v6, null, v20, v6, s2
	global_load_dword v19, v[5:6], off
.LBB4_9:                                ;   in Loop: Header=BB4_7 Depth=2
	s_or_b32 exec_lo, exec_lo, s13
	v_add_nc_u32_e32 v5, s12, v0
	s_waitcnt vmcnt(0)
	ds_write_b32 v8, v19
	v_cmp_gt_i32_e64 s2, s29, v5
	s_and_b32 s2, s2, vcc_lo
	s_and_saveexec_b32 s13, s2
	s_cbranch_execz .LBB4_11
; %bb.10:                               ;   in Loop: Header=BB4_7 Depth=2
	v_ashrrev_i32_e32 v6, 31, v5
	v_lshlrev_b64 v[5:6], 2, v[5:6]
	v_add_co_u32 v5, s2, v16, v5
	v_add_co_ci_u32_e64 v6, null, v17, v6, s2
	global_load_dword v18, v[5:6], off
.LBB4_11:                               ;   in Loop: Header=BB4_7 Depth=2
	s_or_b32 exec_lo, exec_lo, s13
	s_waitcnt vmcnt(0)
	ds_write_b32 v10, v18
	s_waitcnt lgkmcnt(0)
	s_barrier
	buffer_gl0_inv
	s_and_saveexec_b32 s2, s11
	s_cbranch_execz .LBB4_6
; %bb.12:                               ;   in Loop: Header=BB4_7 Depth=2
	global_load_dword v30, v[3:4], off
	ds_read_b128 v[18:21], v7
	ds_read2_b32 v[5:6], v9 offset1:32
	ds_read2_b32 v[26:27], v9 offset0:64 offset1:96
	ds_read_b128 v[22:25], v7 offset:16
	ds_read2_b32 v[28:29], v9 offset0:128 offset1:160
	s_waitcnt lgkmcnt(3)
	v_fma_f32 v31, v18, v5, 0
	v_fmac_f32_e32 v31, v19, v6
	ds_read2_b32 v[5:6], v9 offset0:192 offset1:224
	s_waitcnt lgkmcnt(3)
	v_fmac_f32_e32 v31, v20, v26
	v_fmac_f32_e32 v31, v21, v27
	ds_read_b128 v[18:21], v7 offset:32
	ds_read2_b32 v[26:27], v11 offset1:32
	s_waitcnt lgkmcnt(3)
	v_fmac_f32_e32 v31, v22, v28
	v_fmac_f32_e32 v31, v23, v29
	ds_read2_b32 v[28:29], v11 offset0:64 offset1:96
	s_waitcnt lgkmcnt(3)
	v_fmac_f32_e32 v31, v24, v5
	v_fmac_f32_e32 v31, v25, v6
	ds_read_b128 v[22:25], v7 offset:48
	ds_read2_b32 v[5:6], v11 offset0:128 offset1:160
	s_waitcnt lgkmcnt(3)
	v_fmac_f32_e32 v31, v18, v26
	v_fmac_f32_e32 v31, v19, v27
	ds_read2_b32 v[26:27], v11 offset0:192 offset1:224
	s_waitcnt lgkmcnt(3)
	v_fmac_f32_e32 v31, v20, v28
	v_fmac_f32_e32 v31, v21, v29
	ds_read_b128 v[18:21], v7 offset:64
	ds_read2_b32 v[28:29], v12 offset1:32
	s_waitcnt lgkmcnt(3)
	v_fmac_f32_e32 v31, v22, v5
	v_fmac_f32_e32 v31, v23, v6
	ds_read2_b32 v[5:6], v12 offset0:64 offset1:96
	s_waitcnt lgkmcnt(3)
	v_fmac_f32_e32 v31, v24, v26
	v_fmac_f32_e32 v31, v25, v27
	ds_read_b128 v[22:25], v7 offset:80
	ds_read2_b32 v[26:27], v12 offset0:128 offset1:160
	s_waitcnt lgkmcnt(3)
	v_fmac_f32_e32 v31, v18, v28
	;; [unrolled: 18-line block ×3, first 2 shown]
	v_fmac_f32_e32 v31, v19, v6
	ds_read2_b32 v[5:6], v15 offset0:192 offset1:224
	s_waitcnt lgkmcnt(3)
	v_fmac_f32_e32 v31, v20, v26
	v_fmac_f32_e32 v31, v21, v27
	s_waitcnt lgkmcnt(1)
	v_fmac_f32_e32 v31, v22, v28
	v_fmac_f32_e32 v31, v23, v29
	;; [unrolled: 3-line block ×3, first 2 shown]
	s_waitcnt vmcnt(0)
	v_fmac_f32_e32 v30, s31, v31
	global_store_dword v[3:4], v30, off
	s_branch .LBB4_6
.LBB4_13:
	s_endpgm
	.section	.rodata,"a",@progbits
	.p2align	6, 0x0
	.amdhsa_kernel _ZL24rocblas_symm_hemm_kernelILb0ELb0ELi32EfPKfPfEvbiiT2_T3_lllS4_lllT4_llli
		.amdhsa_group_segment_fixed_size 8192
		.amdhsa_private_segment_fixed_size 0
		.amdhsa_kernarg_size 376
		.amdhsa_user_sgpr_count 6
		.amdhsa_user_sgpr_private_segment_buffer 1
		.amdhsa_user_sgpr_dispatch_ptr 0
		.amdhsa_user_sgpr_queue_ptr 0
		.amdhsa_user_sgpr_kernarg_segment_ptr 1
		.amdhsa_user_sgpr_dispatch_id 0
		.amdhsa_user_sgpr_flat_scratch_init 0
		.amdhsa_user_sgpr_private_segment_size 0
		.amdhsa_wavefront_size32 1
		.amdhsa_uses_dynamic_stack 0
		.amdhsa_system_sgpr_private_segment_wavefront_offset 0
		.amdhsa_system_sgpr_workgroup_id_x 1
		.amdhsa_system_sgpr_workgroup_id_y 1
		.amdhsa_system_sgpr_workgroup_id_z 1
		.amdhsa_system_sgpr_workgroup_info 0
		.amdhsa_system_vgpr_workitem_id 1
		.amdhsa_next_free_vgpr 32
		.amdhsa_next_free_sgpr 44
		.amdhsa_reserve_vcc 1
		.amdhsa_reserve_flat_scratch 0
		.amdhsa_float_round_mode_32 0
		.amdhsa_float_round_mode_16_64 0
		.amdhsa_float_denorm_mode_32 3
		.amdhsa_float_denorm_mode_16_64 3
		.amdhsa_dx10_clamp 1
		.amdhsa_ieee_mode 1
		.amdhsa_fp16_overflow 0
		.amdhsa_workgroup_processor_mode 1
		.amdhsa_memory_ordered 1
		.amdhsa_forward_progress 1
		.amdhsa_shared_vgpr_count 0
		.amdhsa_exception_fp_ieee_invalid_op 0
		.amdhsa_exception_fp_denorm_src 0
		.amdhsa_exception_fp_ieee_div_zero 0
		.amdhsa_exception_fp_ieee_overflow 0
		.amdhsa_exception_fp_ieee_underflow 0
		.amdhsa_exception_fp_ieee_inexact 0
		.amdhsa_exception_int_div_zero 0
	.end_amdhsa_kernel
	.section	.text._ZL24rocblas_symm_hemm_kernelILb0ELb0ELi32EfPKfPfEvbiiT2_T3_lllS4_lllT4_llli,"axG",@progbits,_ZL24rocblas_symm_hemm_kernelILb0ELb0ELi32EfPKfPfEvbiiT2_T3_lllS4_lllT4_llli,comdat
.Lfunc_end4:
	.size	_ZL24rocblas_symm_hemm_kernelILb0ELb0ELi32EfPKfPfEvbiiT2_T3_lllS4_lllT4_llli, .Lfunc_end4-_ZL24rocblas_symm_hemm_kernelILb0ELb0ELi32EfPKfPfEvbiiT2_T3_lllS4_lllT4_llli
                                        ; -- End function
	.set _ZL24rocblas_symm_hemm_kernelILb0ELb0ELi32EfPKfPfEvbiiT2_T3_lllS4_lllT4_llli.num_vgpr, 32
	.set _ZL24rocblas_symm_hemm_kernelILb0ELb0ELi32EfPKfPfEvbiiT2_T3_lllS4_lllT4_llli.num_agpr, 0
	.set _ZL24rocblas_symm_hemm_kernelILb0ELb0ELi32EfPKfPfEvbiiT2_T3_lllS4_lllT4_llli.numbered_sgpr, 44
	.set _ZL24rocblas_symm_hemm_kernelILb0ELb0ELi32EfPKfPfEvbiiT2_T3_lllS4_lllT4_llli.num_named_barrier, 0
	.set _ZL24rocblas_symm_hemm_kernelILb0ELb0ELi32EfPKfPfEvbiiT2_T3_lllS4_lllT4_llli.private_seg_size, 0
	.set _ZL24rocblas_symm_hemm_kernelILb0ELb0ELi32EfPKfPfEvbiiT2_T3_lllS4_lllT4_llli.uses_vcc, 1
	.set _ZL24rocblas_symm_hemm_kernelILb0ELb0ELi32EfPKfPfEvbiiT2_T3_lllS4_lllT4_llli.uses_flat_scratch, 0
	.set _ZL24rocblas_symm_hemm_kernelILb0ELb0ELi32EfPKfPfEvbiiT2_T3_lllS4_lllT4_llli.has_dyn_sized_stack, 0
	.set _ZL24rocblas_symm_hemm_kernelILb0ELb0ELi32EfPKfPfEvbiiT2_T3_lllS4_lllT4_llli.has_recursion, 0
	.set _ZL24rocblas_symm_hemm_kernelILb0ELb0ELi32EfPKfPfEvbiiT2_T3_lllS4_lllT4_llli.has_indirect_call, 0
	.section	.AMDGPU.csdata,"",@progbits
; Kernel info:
; codeLenInByte = 1216
; TotalNumSgprs: 46
; NumVgprs: 32
; ScratchSize: 0
; MemoryBound: 0
; FloatMode: 240
; IeeeMode: 1
; LDSByteSize: 8192 bytes/workgroup (compile time only)
; SGPRBlocks: 0
; VGPRBlocks: 3
; NumSGPRsForWavesPerEU: 46
; NumVGPRsForWavesPerEU: 32
; Occupancy: 16
; WaveLimiterHint : 0
; COMPUTE_PGM_RSRC2:SCRATCH_EN: 0
; COMPUTE_PGM_RSRC2:USER_SGPR: 6
; COMPUTE_PGM_RSRC2:TRAP_HANDLER: 0
; COMPUTE_PGM_RSRC2:TGID_X_EN: 1
; COMPUTE_PGM_RSRC2:TGID_Y_EN: 1
; COMPUTE_PGM_RSRC2:TGID_Z_EN: 1
; COMPUTE_PGM_RSRC2:TIDIG_COMP_CNT: 1
	.section	.text._ZL24rocblas_symm_hemm_kernelILb0ELb1ELi32EfPKfPfEvbiiT2_T3_lllS4_lllT4_llli,"axG",@progbits,_ZL24rocblas_symm_hemm_kernelILb0ELb1ELi32EfPKfPfEvbiiT2_T3_lllS4_lllT4_llli,comdat
	.globl	_ZL24rocblas_symm_hemm_kernelILb0ELb1ELi32EfPKfPfEvbiiT2_T3_lllS4_lllT4_llli ; -- Begin function _ZL24rocblas_symm_hemm_kernelILb0ELb1ELi32EfPKfPfEvbiiT2_T3_lllS4_lllT4_llli
	.p2align	8
	.type	_ZL24rocblas_symm_hemm_kernelILb0ELb1ELi32EfPKfPfEvbiiT2_T3_lllS4_lllT4_llli,@function
_ZL24rocblas_symm_hemm_kernelILb0ELb1ELi32EfPKfPfEvbiiT2_T3_lllS4_lllT4_llli: ; @_ZL24rocblas_symm_hemm_kernelILb0ELb1ELi32EfPKfPfEvbiiT2_T3_lllS4_lllT4_llli
; %bb.0:
	s_load_dwordx4 s[28:31], s[4:5], 0x0
	s_waitcnt lgkmcnt(0)
	v_cmp_eq_f32_e64 s0, s31, 0
	s_and_b32 vcc_lo, exec_lo, s0
	s_cbranch_vccnz .LBB5_13
; %bb.1:
	s_add_i32 s0, s30, -1
	s_ashr_i32 s1, s0, 31
	s_lshr_b32 s1, s1, 27
	s_add_i32 s0, s0, s1
	s_ashr_i32 s3, s0, 5
	s_cmp_gt_i32 s7, s3
	s_cbranch_scc1 .LBB5_13
; %bb.2:
	s_clause 0x1
	s_load_dwordx16 s[12:27], s[4:5], 0x10
	s_load_dwordx8 s[36:43], s[4:5], 0x50
	v_lshl_add_u32 v2, s6, 5, v0
	s_load_dword s4, s[4:5], 0x7c
	v_lshlrev_b32_e32 v4, 2, v1
	v_lshlrev_b32_e32 v6, 7, v0
	v_ashrrev_i32_e32 v3, 31, v2
	v_cmp_gt_i32_e64 s0, s29, v2
	v_or_b32_e32 v8, 0x1000, v4
	v_add_nc_u32_e32 v7, v6, v4
	v_lshlrev_b64 v[2:3], 2, v[2:3]
	v_add_nc_u32_e32 v9, v8, v6
	v_add_nc_u32_e32 v14, 0x400, v8
	;; [unrolled: 1-line block ×4, first 2 shown]
	s_waitcnt lgkmcnt(0)
	s_mul_i32 s1, s19, s8
	s_mul_hi_u32 s2, s18, s8
	s_mul_i32 s10, s18, s8
	s_add_i32 s11, s2, s1
	s_mul_i32 s2, s43, s8
	s_lshl_b64 s[10:11], s[10:11], 2
	s_mul_hi_u32 s9, s42, s8
	s_add_u32 s1, s12, s10
	s_addc_u32 s6, s13, s11
	s_lshl_b64 s[10:11], s[14:15], 2
	s_add_u32 s5, s1, s10
	s_addc_u32 s6, s6, s11
	s_bitcmp1_b32 s28, 0
	s_mul_i32 s10, s42, s8
	s_cselect_b32 s1, -1, 0
	s_add_i32 s11, s9, s2
	s_mul_i32 s2, s27, s8
	s_lshl_b64 s[10:11], s[10:11], 2
	s_mul_hi_u32 s9, s26, s8
	s_add_u32 s12, s36, s10
	s_addc_u32 s13, s37, s11
	s_lshl_b64 s[10:11], s[38:39], 2
	s_mul_i32 s8, s26, s8
	s_add_u32 s10, s12, s10
	s_addc_u32 s11, s13, s11
	s_add_i32 s9, s9, s2
	s_lshl_b64 s[8:9], s[8:9], 2
	s_add_u32 s2, s20, s8
	s_addc_u32 s12, s21, s9
	s_lshl_b64 s[8:9], s[22:23], 2
	s_add_u32 s2, s2, s8
	s_addc_u32 s8, s12, s9
	v_add_co_u32 v10, vcc_lo, s2, v2
	v_add_co_ci_u32_e64 v11, null, s8, v3, vcc_lo
	v_add_co_u32 v12, vcc_lo, s10, v2
	v_add_co_ci_u32_e64 v13, null, s11, v3, vcc_lo
	s_cmp_gt_i32 s30, 0
	s_cselect_b32 s8, -1, 0
	s_branch .LBB5_4
.LBB5_3:                                ;   in Loop: Header=BB5_4 Depth=1
	s_add_i32 s7, s7, s4
	s_cmp_gt_i32 s7, s3
	s_cbranch_scc1 .LBB5_13
.LBB5_4:                                ; =>This Loop Header: Depth=1
                                        ;     Child Loop BB5_7 Depth 2
	s_andn2_b32 vcc_lo, exec_lo, s8
	s_cbranch_vccnz .LBB5_3
; %bb.5:                                ;   in Loop: Header=BB5_4 Depth=1
	v_lshl_add_u32 v17, s7, 5, v1
	s_mov_b32 s9, 0
	v_ashrrev_i32_e32 v4, 31, v17
	v_mul_lo_u32 v5, s41, v17
	v_mad_u64_u32 v[2:3], null, s40, v17, 0
	v_cmp_gt_i32_e32 vcc_lo, s30, v17
	v_mul_lo_u32 v4, s40, v4
	v_add3_u32 v3, v3, v4, v5
	v_lshlrev_b64 v[2:3], 2, v[2:3]
	v_add_co_u32 v2, s2, v12, v2
	v_add_co_ci_u32_e64 v3, null, v13, v3, s2
	s_and_b32 s2, s0, vcc_lo
	s_branch .LBB5_7
.LBB5_6:                                ;   in Loop: Header=BB5_7 Depth=2
	s_or_b32 exec_lo, exec_lo, s10
	s_add_i32 s9, s9, 32
	s_waitcnt_vscnt null, 0x0
	s_cmp_ge_i32 s9, s30
	s_barrier
	buffer_gl0_inv
	s_cbranch_scc1 .LBB5_3
.LBB5_7:                                ;   Parent Loop BB5_4 Depth=1
                                        ; =>  This Inner Loop Header: Depth=2
	v_add_nc_u32_e32 v4, s9, v1
	v_mov_b32_e32 v5, 0
	v_mov_b32_e32 v18, 0
	v_cmp_gt_i32_e32 vcc_lo, s30, v4
	s_and_b32 s11, s0, vcc_lo
	s_and_saveexec_b32 s10, s11
	s_cbranch_execz .LBB5_9
; %bb.8:                                ;   in Loop: Header=BB5_7 Depth=2
	v_ashrrev_i32_e32 v20, 31, v4
	v_mul_lo_u32 v21, s25, v4
	v_mad_u64_u32 v[18:19], null, s24, v4, 0
	v_mul_lo_u32 v4, s24, v20
	v_add3_u32 v19, v19, v4, v21
	v_lshlrev_b64 v[18:19], 2, v[18:19]
	v_add_co_u32 v18, vcc_lo, v10, v18
	v_add_co_ci_u32_e64 v19, null, v11, v19, vcc_lo
	global_load_dword v18, v[18:19], off
.LBB5_9:                                ;   in Loop: Header=BB5_7 Depth=2
	s_or_b32 exec_lo, exec_lo, s10
	v_add_nc_u32_e32 v19, s9, v0
	s_mov_b32 s10, exec_lo
	s_waitcnt vmcnt(0)
	ds_write_b32 v7, v18
	v_cndmask_b32_e64 v4, v17, v19, s1
	v_cndmask_b32_e64 v20, v19, v17, s1
	v_cmp_gt_i32_e32 vcc_lo, v4, v20
	v_cndmask_b32_e32 v4, v19, v17, vcc_lo
	v_cndmask_b32_e32 v19, v17, v19, vcc_lo
	v_max_i32_e32 v20, v4, v19
	v_cmpx_gt_i32_e64 s30, v20
	s_cbranch_execz .LBB5_11
; %bb.10:                               ;   in Loop: Header=BB5_7 Depth=2
	v_ashrrev_i32_e32 v5, 31, v19
	v_mul_lo_u32 v20, s17, v19
	v_mad_u64_u32 v[18:19], null, s16, v19, 0
	v_mul_lo_u32 v5, s16, v5
	v_add3_u32 v19, v19, v5, v20
	v_ashrrev_i32_e32 v5, 31, v4
	v_lshlrev_b64 v[18:19], 2, v[18:19]
	v_lshlrev_b64 v[4:5], 2, v[4:5]
	v_add_co_u32 v18, vcc_lo, s5, v18
	v_add_co_ci_u32_e64 v19, null, s6, v19, vcc_lo
	v_add_co_u32 v4, vcc_lo, v18, v4
	v_add_co_ci_u32_e64 v5, null, v19, v5, vcc_lo
	global_load_dword v5, v[4:5], off
.LBB5_11:                               ;   in Loop: Header=BB5_7 Depth=2
	s_or_b32 exec_lo, exec_lo, s10
	s_waitcnt vmcnt(0)
	ds_write_b32 v9, v5
	s_waitcnt lgkmcnt(0)
	s_barrier
	buffer_gl0_inv
	s_and_saveexec_b32 s10, s2
	s_cbranch_execz .LBB5_6
; %bb.12:                               ;   in Loop: Header=BB5_7 Depth=2
	global_load_dword v30, v[2:3], off
	ds_read_b128 v[18:21], v6
	ds_read2_b32 v[4:5], v8 offset1:32
	ds_read2_b32 v[26:27], v8 offset0:64 offset1:96
	ds_read_b128 v[22:25], v6 offset:16
	ds_read2_b32 v[28:29], v8 offset0:128 offset1:160
	s_waitcnt lgkmcnt(3)
	v_fma_f32 v31, v18, v4, 0
	v_fmac_f32_e32 v31, v19, v5
	ds_read2_b32 v[4:5], v8 offset0:192 offset1:224
	s_waitcnt lgkmcnt(3)
	v_fmac_f32_e32 v31, v20, v26
	v_fmac_f32_e32 v31, v21, v27
	ds_read_b128 v[18:21], v6 offset:32
	ds_read2_b32 v[26:27], v14 offset1:32
	s_waitcnt lgkmcnt(3)
	v_fmac_f32_e32 v31, v22, v28
	v_fmac_f32_e32 v31, v23, v29
	ds_read2_b32 v[28:29], v14 offset0:64 offset1:96
	s_waitcnt lgkmcnt(3)
	v_fmac_f32_e32 v31, v24, v4
	v_fmac_f32_e32 v31, v25, v5
	ds_read_b128 v[22:25], v6 offset:48
	ds_read2_b32 v[4:5], v14 offset0:128 offset1:160
	s_waitcnt lgkmcnt(3)
	v_fmac_f32_e32 v31, v18, v26
	v_fmac_f32_e32 v31, v19, v27
	ds_read2_b32 v[26:27], v14 offset0:192 offset1:224
	s_waitcnt lgkmcnt(3)
	v_fmac_f32_e32 v31, v20, v28
	v_fmac_f32_e32 v31, v21, v29
	ds_read_b128 v[18:21], v6 offset:64
	ds_read2_b32 v[28:29], v15 offset1:32
	s_waitcnt lgkmcnt(3)
	v_fmac_f32_e32 v31, v22, v4
	v_fmac_f32_e32 v31, v23, v5
	ds_read2_b32 v[4:5], v15 offset0:64 offset1:96
	s_waitcnt lgkmcnt(3)
	v_fmac_f32_e32 v31, v24, v26
	v_fmac_f32_e32 v31, v25, v27
	ds_read_b128 v[22:25], v6 offset:80
	ds_read2_b32 v[26:27], v15 offset0:128 offset1:160
	s_waitcnt lgkmcnt(3)
	v_fmac_f32_e32 v31, v18, v28
	;; [unrolled: 18-line block ×3, first 2 shown]
	v_fmac_f32_e32 v31, v19, v5
	ds_read2_b32 v[4:5], v16 offset0:192 offset1:224
	s_waitcnt lgkmcnt(3)
	v_fmac_f32_e32 v31, v20, v26
	v_fmac_f32_e32 v31, v21, v27
	s_waitcnt lgkmcnt(1)
	v_fmac_f32_e32 v31, v22, v28
	v_fmac_f32_e32 v31, v23, v29
	;; [unrolled: 3-line block ×3, first 2 shown]
	s_waitcnt vmcnt(0)
	v_fmac_f32_e32 v30, s31, v31
	global_store_dword v[2:3], v30, off
	s_branch .LBB5_6
.LBB5_13:
	s_endpgm
	.section	.rodata,"a",@progbits
	.p2align	6, 0x0
	.amdhsa_kernel _ZL24rocblas_symm_hemm_kernelILb0ELb1ELi32EfPKfPfEvbiiT2_T3_lllS4_lllT4_llli
		.amdhsa_group_segment_fixed_size 8192
		.amdhsa_private_segment_fixed_size 0
		.amdhsa_kernarg_size 376
		.amdhsa_user_sgpr_count 6
		.amdhsa_user_sgpr_private_segment_buffer 1
		.amdhsa_user_sgpr_dispatch_ptr 0
		.amdhsa_user_sgpr_queue_ptr 0
		.amdhsa_user_sgpr_kernarg_segment_ptr 1
		.amdhsa_user_sgpr_dispatch_id 0
		.amdhsa_user_sgpr_flat_scratch_init 0
		.amdhsa_user_sgpr_private_segment_size 0
		.amdhsa_wavefront_size32 1
		.amdhsa_uses_dynamic_stack 0
		.amdhsa_system_sgpr_private_segment_wavefront_offset 0
		.amdhsa_system_sgpr_workgroup_id_x 1
		.amdhsa_system_sgpr_workgroup_id_y 1
		.amdhsa_system_sgpr_workgroup_id_z 1
		.amdhsa_system_sgpr_workgroup_info 0
		.amdhsa_system_vgpr_workitem_id 1
		.amdhsa_next_free_vgpr 32
		.amdhsa_next_free_sgpr 44
		.amdhsa_reserve_vcc 1
		.amdhsa_reserve_flat_scratch 0
		.amdhsa_float_round_mode_32 0
		.amdhsa_float_round_mode_16_64 0
		.amdhsa_float_denorm_mode_32 3
		.amdhsa_float_denorm_mode_16_64 3
		.amdhsa_dx10_clamp 1
		.amdhsa_ieee_mode 1
		.amdhsa_fp16_overflow 0
		.amdhsa_workgroup_processor_mode 1
		.amdhsa_memory_ordered 1
		.amdhsa_forward_progress 1
		.amdhsa_shared_vgpr_count 0
		.amdhsa_exception_fp_ieee_invalid_op 0
		.amdhsa_exception_fp_denorm_src 0
		.amdhsa_exception_fp_ieee_div_zero 0
		.amdhsa_exception_fp_ieee_overflow 0
		.amdhsa_exception_fp_ieee_underflow 0
		.amdhsa_exception_fp_ieee_inexact 0
		.amdhsa_exception_int_div_zero 0
	.end_amdhsa_kernel
	.section	.text._ZL24rocblas_symm_hemm_kernelILb0ELb1ELi32EfPKfPfEvbiiT2_T3_lllS4_lllT4_llli,"axG",@progbits,_ZL24rocblas_symm_hemm_kernelILb0ELb1ELi32EfPKfPfEvbiiT2_T3_lllS4_lllT4_llli,comdat
.Lfunc_end5:
	.size	_ZL24rocblas_symm_hemm_kernelILb0ELb1ELi32EfPKfPfEvbiiT2_T3_lllS4_lllT4_llli, .Lfunc_end5-_ZL24rocblas_symm_hemm_kernelILb0ELb1ELi32EfPKfPfEvbiiT2_T3_lllS4_lllT4_llli
                                        ; -- End function
	.set _ZL24rocblas_symm_hemm_kernelILb0ELb1ELi32EfPKfPfEvbiiT2_T3_lllS4_lllT4_llli.num_vgpr, 32
	.set _ZL24rocblas_symm_hemm_kernelILb0ELb1ELi32EfPKfPfEvbiiT2_T3_lllS4_lllT4_llli.num_agpr, 0
	.set _ZL24rocblas_symm_hemm_kernelILb0ELb1ELi32EfPKfPfEvbiiT2_T3_lllS4_lllT4_llli.numbered_sgpr, 44
	.set _ZL24rocblas_symm_hemm_kernelILb0ELb1ELi32EfPKfPfEvbiiT2_T3_lllS4_lllT4_llli.num_named_barrier, 0
	.set _ZL24rocblas_symm_hemm_kernelILb0ELb1ELi32EfPKfPfEvbiiT2_T3_lllS4_lllT4_llli.private_seg_size, 0
	.set _ZL24rocblas_symm_hemm_kernelILb0ELb1ELi32EfPKfPfEvbiiT2_T3_lllS4_lllT4_llli.uses_vcc, 1
	.set _ZL24rocblas_symm_hemm_kernelILb0ELb1ELi32EfPKfPfEvbiiT2_T3_lllS4_lllT4_llli.uses_flat_scratch, 0
	.set _ZL24rocblas_symm_hemm_kernelILb0ELb1ELi32EfPKfPfEvbiiT2_T3_lllS4_lllT4_llli.has_dyn_sized_stack, 0
	.set _ZL24rocblas_symm_hemm_kernelILb0ELb1ELi32EfPKfPfEvbiiT2_T3_lllS4_lllT4_llli.has_recursion, 0
	.set _ZL24rocblas_symm_hemm_kernelILb0ELb1ELi32EfPKfPfEvbiiT2_T3_lllS4_lllT4_llli.has_indirect_call, 0
	.section	.AMDGPU.csdata,"",@progbits
; Kernel info:
; codeLenInByte = 1192
; TotalNumSgprs: 46
; NumVgprs: 32
; ScratchSize: 0
; MemoryBound: 0
; FloatMode: 240
; IeeeMode: 1
; LDSByteSize: 8192 bytes/workgroup (compile time only)
; SGPRBlocks: 0
; VGPRBlocks: 3
; NumSGPRsForWavesPerEU: 46
; NumVGPRsForWavesPerEU: 32
; Occupancy: 16
; WaveLimiterHint : 0
; COMPUTE_PGM_RSRC2:SCRATCH_EN: 0
; COMPUTE_PGM_RSRC2:USER_SGPR: 6
; COMPUTE_PGM_RSRC2:TRAP_HANDLER: 0
; COMPUTE_PGM_RSRC2:TGID_X_EN: 1
; COMPUTE_PGM_RSRC2:TGID_Y_EN: 1
; COMPUTE_PGM_RSRC2:TGID_Z_EN: 1
; COMPUTE_PGM_RSRC2:TIDIG_COMP_CNT: 1
	.section	.text._ZL25rocblas_symm_scale_kernelILi128ELi8EPKdPdEviiT1_T2_llli,"axG",@progbits,_ZL25rocblas_symm_scale_kernelILi128ELi8EPKdPdEviiT1_T2_llli,comdat
	.globl	_ZL25rocblas_symm_scale_kernelILi128ELi8EPKdPdEviiT1_T2_llli ; -- Begin function _ZL25rocblas_symm_scale_kernelILi128ELi8EPKdPdEviiT1_T2_llli
	.p2align	8
	.type	_ZL25rocblas_symm_scale_kernelILi128ELi8EPKdPdEviiT1_T2_llli,@function
_ZL25rocblas_symm_scale_kernelILi128ELi8EPKdPdEviiT1_T2_llli: ; @_ZL25rocblas_symm_scale_kernelILi128ELi8EPKdPdEviiT1_T2_llli
; %bb.0:
	s_load_dwordx8 s[12:19], s[4:5], 0x8
	s_waitcnt lgkmcnt(0)
	s_load_dwordx2 s[2:3], s[12:13], 0x0
	s_waitcnt lgkmcnt(0)
	v_cmp_eq_f64_e64 s0, s[2:3], 1.0
	s_and_b32 vcc_lo, exec_lo, s0
	s_cbranch_vccnz .LBB6_7
; %bb.1:
	s_load_dwordx2 s[0:1], s[4:5], 0x0
	v_lshl_add_u32 v1, s7, 3, v1
	v_mov_b32_e32 v2, 0
	v_lshl_add_u32 v3, s6, 7, v0
	s_waitcnt lgkmcnt(0)
	s_ashr_i32 s7, s1, 31
	s_mov_b32 s6, s1
	v_cmp_gt_u32_e64 s0, s0, v3
	v_cmp_gt_i64_e32 vcc_lo, s[6:7], v[1:2]
	s_and_b32 s0, s0, vcc_lo
	s_and_saveexec_b32 s1, s0
	s_cbranch_execz .LBB6_7
; %bb.2:
	s_clause 0x1
	s_load_dword s0, s[4:5], 0x3c
	s_load_dwordx2 s[4:5], s[4:5], 0x28
	v_mad_u64_u32 v[5:6], null, s18, v1, 0
	v_mov_b32_e32 v4, v2
	s_lshl_b64 s[10:11], s[16:17], 3
	s_mov_b32 s9, 0
	v_lshlrev_b64 v[3:4], 3, v[3:4]
	v_mov_b32_e32 v0, v6
	v_mad_u64_u32 v[6:7], null, s19, v1, v[0:1]
	s_waitcnt lgkmcnt(0)
	s_lshl_b32 s1, s0, 3
	s_mul_i32 s0, s5, s8
	s_mul_hi_u32 s5, s4, s8
	s_mul_i32 s4, s4, s8
	s_add_i32 s5, s5, s0
	v_lshlrev_b64 v[5:6], 3, v[5:6]
	v_cmp_neq_f64_e64 s8, s[2:3], 0
	s_lshl_b64 s[4:5], s[4:5], 3
	s_mul_i32 s0, s19, s1
	s_add_u32 s4, s10, s4
	s_addc_u32 s5, s11, s5
	v_add_co_u32 v0, vcc_lo, s4, v5
	v_add_co_ci_u32_e64 v5, null, s5, v6, vcc_lo
	s_mul_hi_u32 s4, s18, s1
	v_add_co_u32 v0, vcc_lo, v0, v3
	v_add_co_ci_u32_e64 v4, null, v5, v4, vcc_lo
	s_add_i32 s5, s4, s0
	v_add_co_u32 v3, vcc_lo, s14, v0
	v_add_co_ci_u32_e64 v4, null, s15, v4, vcc_lo
	s_mul_i32 s4, s18, s1
	s_lshl_b64 s[4:5], s[4:5], 3
	s_branch .LBB6_5
	.p2align	6
.LBB6_3:                                ;   in Loop: Header=BB6_5 Depth=1
	global_load_dwordx2 v[5:6], v[3:4], off
	s_waitcnt vmcnt(0)
	v_mul_f64 v[5:6], s[2:3], v[5:6]
.LBB6_4:                                ;   in Loop: Header=BB6_5 Depth=1
	v_add_co_u32 v1, vcc_lo, v1, s1
	v_add_co_ci_u32_e64 v2, null, 0, v2, vcc_lo
	global_store_dwordx2 v[3:4], v[5:6], off
	v_add_co_u32 v3, s0, v3, s4
	v_cmp_le_i64_e32 vcc_lo, s[6:7], v[1:2]
	v_add_co_ci_u32_e64 v4, null, s5, v4, s0
	s_or_b32 s9, vcc_lo, s9
	s_andn2_b32 exec_lo, exec_lo, s9
	s_cbranch_execz .LBB6_7
.LBB6_5:                                ; =>This Inner Loop Header: Depth=1
	s_andn2_b32 vcc_lo, exec_lo, s8
	s_cbranch_vccz .LBB6_3
; %bb.6:                                ;   in Loop: Header=BB6_5 Depth=1
	v_mov_b32_e32 v5, 0
	v_mov_b32_e32 v6, 0
	s_branch .LBB6_4
.LBB6_7:
	s_endpgm
	.section	.rodata,"a",@progbits
	.p2align	6, 0x0
	.amdhsa_kernel _ZL25rocblas_symm_scale_kernelILi128ELi8EPKdPdEviiT1_T2_llli
		.amdhsa_group_segment_fixed_size 0
		.amdhsa_private_segment_fixed_size 0
		.amdhsa_kernarg_size 312
		.amdhsa_user_sgpr_count 6
		.amdhsa_user_sgpr_private_segment_buffer 1
		.amdhsa_user_sgpr_dispatch_ptr 0
		.amdhsa_user_sgpr_queue_ptr 0
		.amdhsa_user_sgpr_kernarg_segment_ptr 1
		.amdhsa_user_sgpr_dispatch_id 0
		.amdhsa_user_sgpr_flat_scratch_init 0
		.amdhsa_user_sgpr_private_segment_size 0
		.amdhsa_wavefront_size32 1
		.amdhsa_uses_dynamic_stack 0
		.amdhsa_system_sgpr_private_segment_wavefront_offset 0
		.amdhsa_system_sgpr_workgroup_id_x 1
		.amdhsa_system_sgpr_workgroup_id_y 1
		.amdhsa_system_sgpr_workgroup_id_z 1
		.amdhsa_system_sgpr_workgroup_info 0
		.amdhsa_system_vgpr_workitem_id 1
		.amdhsa_next_free_vgpr 8
		.amdhsa_next_free_sgpr 20
		.amdhsa_reserve_vcc 1
		.amdhsa_reserve_flat_scratch 0
		.amdhsa_float_round_mode_32 0
		.amdhsa_float_round_mode_16_64 0
		.amdhsa_float_denorm_mode_32 3
		.amdhsa_float_denorm_mode_16_64 3
		.amdhsa_dx10_clamp 1
		.amdhsa_ieee_mode 1
		.amdhsa_fp16_overflow 0
		.amdhsa_workgroup_processor_mode 1
		.amdhsa_memory_ordered 1
		.amdhsa_forward_progress 1
		.amdhsa_shared_vgpr_count 0
		.amdhsa_exception_fp_ieee_invalid_op 0
		.amdhsa_exception_fp_denorm_src 0
		.amdhsa_exception_fp_ieee_div_zero 0
		.amdhsa_exception_fp_ieee_overflow 0
		.amdhsa_exception_fp_ieee_underflow 0
		.amdhsa_exception_fp_ieee_inexact 0
		.amdhsa_exception_int_div_zero 0
	.end_amdhsa_kernel
	.section	.text._ZL25rocblas_symm_scale_kernelILi128ELi8EPKdPdEviiT1_T2_llli,"axG",@progbits,_ZL25rocblas_symm_scale_kernelILi128ELi8EPKdPdEviiT1_T2_llli,comdat
.Lfunc_end6:
	.size	_ZL25rocblas_symm_scale_kernelILi128ELi8EPKdPdEviiT1_T2_llli, .Lfunc_end6-_ZL25rocblas_symm_scale_kernelILi128ELi8EPKdPdEviiT1_T2_llli
                                        ; -- End function
	.set _ZL25rocblas_symm_scale_kernelILi128ELi8EPKdPdEviiT1_T2_llli.num_vgpr, 8
	.set _ZL25rocblas_symm_scale_kernelILi128ELi8EPKdPdEviiT1_T2_llli.num_agpr, 0
	.set _ZL25rocblas_symm_scale_kernelILi128ELi8EPKdPdEviiT1_T2_llli.numbered_sgpr, 20
	.set _ZL25rocblas_symm_scale_kernelILi128ELi8EPKdPdEviiT1_T2_llli.num_named_barrier, 0
	.set _ZL25rocblas_symm_scale_kernelILi128ELi8EPKdPdEviiT1_T2_llli.private_seg_size, 0
	.set _ZL25rocblas_symm_scale_kernelILi128ELi8EPKdPdEviiT1_T2_llli.uses_vcc, 1
	.set _ZL25rocblas_symm_scale_kernelILi128ELi8EPKdPdEviiT1_T2_llli.uses_flat_scratch, 0
	.set _ZL25rocblas_symm_scale_kernelILi128ELi8EPKdPdEviiT1_T2_llli.has_dyn_sized_stack, 0
	.set _ZL25rocblas_symm_scale_kernelILi128ELi8EPKdPdEviiT1_T2_llli.has_recursion, 0
	.set _ZL25rocblas_symm_scale_kernelILi128ELi8EPKdPdEviiT1_T2_llli.has_indirect_call, 0
	.section	.AMDGPU.csdata,"",@progbits
; Kernel info:
; codeLenInByte = 420
; TotalNumSgprs: 22
; NumVgprs: 8
; ScratchSize: 0
; MemoryBound: 1
; FloatMode: 240
; IeeeMode: 1
; LDSByteSize: 0 bytes/workgroup (compile time only)
; SGPRBlocks: 0
; VGPRBlocks: 0
; NumSGPRsForWavesPerEU: 22
; NumVGPRsForWavesPerEU: 8
; Occupancy: 16
; WaveLimiterHint : 0
; COMPUTE_PGM_RSRC2:SCRATCH_EN: 0
; COMPUTE_PGM_RSRC2:USER_SGPR: 6
; COMPUTE_PGM_RSRC2:TRAP_HANDLER: 0
; COMPUTE_PGM_RSRC2:TGID_X_EN: 1
; COMPUTE_PGM_RSRC2:TGID_Y_EN: 1
; COMPUTE_PGM_RSRC2:TGID_Z_EN: 1
; COMPUTE_PGM_RSRC2:TIDIG_COMP_CNT: 1
	.section	.text._ZL24rocblas_symm_hemm_kernelILb0ELb0ELi32EPKdS1_PdEvbiiT2_T3_lllS4_lllT4_llli,"axG",@progbits,_ZL24rocblas_symm_hemm_kernelILb0ELb0ELi32EPKdS1_PdEvbiiT2_T3_lllS4_lllT4_llli,comdat
	.globl	_ZL24rocblas_symm_hemm_kernelILb0ELb0ELi32EPKdS1_PdEvbiiT2_T3_lllS4_lllT4_llli ; -- Begin function _ZL24rocblas_symm_hemm_kernelILb0ELb0ELi32EPKdS1_PdEvbiiT2_T3_lllS4_lllT4_llli
	.p2align	8
	.type	_ZL24rocblas_symm_hemm_kernelILb0ELb0ELi32EPKdS1_PdEvbiiT2_T3_lllS4_lllT4_llli,@function
_ZL24rocblas_symm_hemm_kernelILb0ELb0ELi32EPKdS1_PdEvbiiT2_T3_lllS4_lllT4_llli: ; @_ZL24rocblas_symm_hemm_kernelILb0ELb0ELi32EPKdS1_PdEvbiiT2_T3_lllS4_lllT4_llli
; %bb.0:
	s_load_dwordx16 s[12:27], s[4:5], 0x10
	s_waitcnt lgkmcnt(0)
	s_load_dwordx2 s[10:11], s[12:13], 0x0
	s_waitcnt lgkmcnt(0)
	v_cmp_eq_f64_e64 s0, s[10:11], 0
	s_and_b32 vcc_lo, exec_lo, s0
	s_cbranch_vccnz .LBB7_13
; %bb.1:
	s_load_dwordx4 s[28:31], s[4:5], 0x0
	s_waitcnt lgkmcnt(0)
	s_add_i32 s0, s30, -1
	s_ashr_i32 s1, s0, 31
	s_lshr_b32 s1, s1, 27
	s_add_i32 s0, s0, s1
	s_ashr_i32 s3, s0, 5
	s_cmp_gt_i32 s7, s3
	s_cbranch_scc1 .LBB7_13
; %bb.2:
	s_clause 0x1
	s_load_dwordx8 s[36:43], s[4:5], 0x50
	s_load_dwordx2 s[0:1], s[4:5], 0x70
	s_mul_i32 s2, s21, s8
	s_mul_hi_u32 s9, s20, s8
	s_mul_i32 s12, s20, s8
	s_add_i32 s13, s9, s2
	v_lshl_add_u32 v2, s6, 5, v0
	s_lshl_b64 s[12:13], s[12:13], 3
	s_load_dword s4, s[4:5], 0x84
	s_add_u32 s2, s14, s12
	s_addc_u32 s6, s15, s13
	s_lshl_b64 s[12:13], s[16:17], 3
	v_lshlrev_b32_e32 v10, 8, v0
	s_add_u32 s5, s2, s12
	s_addc_u32 s6, s6, s13
	v_lshlrev_b32_e32 v4, 3, v1
	v_ashrrev_i32_e32 v3, 31, v2
	v_add_nc_u32_e32 v11, v10, v4
	s_waitcnt lgkmcnt(0)
	s_mul_i32 s2, s37, s8
	s_mul_hi_u32 s9, s36, s8
	s_mul_i32 s12, s36, s8
	s_add_i32 s13, s9, s2
	s_mul_i32 s1, s1, s8
	s_lshl_b64 s[12:13], s[12:13], 3
	s_mul_hi_u32 s15, s0, s8
	s_add_u32 s2, s22, s12
	s_addc_u32 s14, s23, s13
	s_lshl_b64 s[12:13], s[24:25], 3
	v_or_b32_e32 v12, 0x2000, v4
	s_add_u32 s9, s2, s12
	s_addc_u32 s12, s14, s13
	s_bitcmp1_b32 s28, 0
	s_mul_i32 s14, s0, s8
	s_cselect_b32 s0, -1, 0
	s_add_i32 s15, s15, s1
	v_lshlrev_b64 v[3:4], 3, v[2:3]
	s_lshl_b64 s[14:15], s[14:15], 3
	v_add_nc_u32_e32 v13, v12, v10
	s_add_u32 s1, s38, s14
	s_addc_u32 s2, s39, s15
	s_lshl_b64 s[14:15], s[40:41], 3
	v_add_nc_u32_e32 v16, 0x800, v12
	s_add_u32 s8, s1, s14
	s_addc_u32 s2, s2, s15
	v_add_co_u32 v14, vcc_lo, s8, v3
	v_cmp_gt_i32_e64 s1, s29, v2
	v_add_co_ci_u32_e64 v15, null, s2, v4, vcc_lo
	v_add_nc_u32_e32 v17, 0x1000, v12
	v_add_nc_u32_e32 v18, 0x1800, v12
	s_cmp_gt_i32 s29, 0
	s_cselect_b32 s8, -1, 0
	s_branch .LBB7_4
.LBB7_3:                                ;   in Loop: Header=BB7_4 Depth=1
	s_add_i32 s7, s7, s4
	s_cmp_gt_i32 s7, s3
	s_cbranch_scc1 .LBB7_13
.LBB7_4:                                ; =>This Loop Header: Depth=1
                                        ;     Child Loop BB7_7 Depth 2
	s_andn2_b32 vcc_lo, exec_lo, s8
	s_cbranch_vccnz .LBB7_3
; %bb.5:                                ;   in Loop: Header=BB7_4 Depth=1
	v_lshl_add_u32 v7, s7, 5, v1
	s_mov_b32 s14, 0
	v_ashrrev_i32_e32 v8, 31, v7
	v_mul_lo_u32 v9, s27, v7
	v_mad_u64_u32 v[3:4], null, s26, v7, 0
	v_mul_lo_u32 v20, s43, v7
	v_mul_lo_u32 v19, s26, v8
	v_mad_u64_u32 v[5:6], null, s42, v7, 0
	v_mul_lo_u32 v8, s42, v8
	v_cmp_gt_i32_e32 vcc_lo, s30, v7
	v_add3_u32 v4, v4, v19, v9
	s_and_b32 s13, s1, vcc_lo
	v_add3_u32 v6, v6, v8, v20
	v_lshlrev_b64 v[3:4], 3, v[3:4]
	v_lshlrev_b64 v[5:6], 3, v[5:6]
	v_add_co_u32 v19, s2, s9, v3
	v_add_co_ci_u32_e64 v20, null, s12, v4, s2
	v_add_co_u32 v3, s2, v14, v5
	v_add_co_ci_u32_e64 v4, null, v15, v6, s2
	s_branch .LBB7_7
.LBB7_6:                                ;   in Loop: Header=BB7_7 Depth=2
	s_or_b32 exec_lo, exec_lo, s2
	s_add_i32 s14, s14, 32
	s_waitcnt_vscnt null, 0x0
	s_cmp_ge_i32 s14, s29
	s_barrier
	buffer_gl0_inv
	s_cbranch_scc1 .LBB7_3
.LBB7_7:                                ;   Parent Loop BB7_4 Depth=1
                                        ; =>  This Inner Loop Header: Depth=2
	v_add_nc_u32_e32 v5, s14, v1
	v_mov_b32_e32 v8, 0
	v_mov_b32_e32 v9, 0
	s_mov_b32 s15, exec_lo
	v_cndmask_b32_e64 v6, v5, v2, s0
	v_cndmask_b32_e64 v7, v2, v5, s0
	v_cmp_gt_i32_e64 s2, v6, v7
	v_cndmask_b32_e64 v7, v2, v5, s2
	v_cndmask_b32_e64 v21, v5, v2, s2
	v_mov_b32_e32 v5, 0
	v_mov_b32_e32 v6, 0
	v_max_i32_e32 v22, v7, v21
	v_cmpx_gt_i32_e64 s29, v22
	s_cbranch_execz .LBB7_9
; %bb.8:                                ;   in Loop: Header=BB7_7 Depth=2
	v_ashrrev_i32_e32 v8, 31, v21
	v_mul_lo_u32 v9, s19, v21
	v_mad_u64_u32 v[21:22], null, s18, v21, 0
	v_mul_lo_u32 v8, s18, v8
	v_add3_u32 v22, v22, v8, v9
	v_ashrrev_i32_e32 v8, 31, v7
	v_lshlrev_b64 v[21:22], 3, v[21:22]
	v_lshlrev_b64 v[7:8], 3, v[7:8]
	v_add_co_u32 v9, s2, s5, v21
	v_add_co_ci_u32_e64 v21, null, s6, v22, s2
	v_add_co_u32 v7, s2, v9, v7
	v_add_co_ci_u32_e64 v8, null, v21, v8, s2
	global_load_dwordx2 v[8:9], v[7:8], off
.LBB7_9:                                ;   in Loop: Header=BB7_7 Depth=2
	s_or_b32 exec_lo, exec_lo, s15
	v_add_nc_u32_e32 v7, s14, v0
	s_waitcnt vmcnt(0)
	ds_write_b64 v11, v[8:9]
	v_cmp_gt_i32_e64 s2, s29, v7
	s_and_b32 s2, s2, vcc_lo
	s_and_saveexec_b32 s15, s2
	s_cbranch_execz .LBB7_11
; %bb.10:                               ;   in Loop: Header=BB7_7 Depth=2
	v_ashrrev_i32_e32 v8, 31, v7
	v_lshlrev_b64 v[5:6], 3, v[7:8]
	v_add_co_u32 v5, s2, v19, v5
	v_add_co_ci_u32_e64 v6, null, v20, v6, s2
	global_load_dwordx2 v[5:6], v[5:6], off
.LBB7_11:                               ;   in Loop: Header=BB7_7 Depth=2
	s_or_b32 exec_lo, exec_lo, s15
	s_waitcnt vmcnt(0)
	ds_write_b64 v13, v[5:6]
	s_waitcnt lgkmcnt(0)
	s_barrier
	buffer_gl0_inv
	s_and_saveexec_b32 s2, s13
	s_cbranch_execz .LBB7_6
; %bb.12:                               ;   in Loop: Header=BB7_7 Depth=2
	ds_read2_b64 v[5:8], v12 offset1:32
	ds_read_b128 v[21:24], v10
	ds_read_b128 v[25:28], v10 offset:16
	s_waitcnt lgkmcnt(1)
	v_fma_f64 v[5:6], v[21:22], v[5:6], 0
	v_fma_f64 v[21:22], v[23:24], v[7:8], v[5:6]
	ds_read2_b64 v[5:8], v12 offset0:64 offset1:96
	s_waitcnt lgkmcnt(0)
	v_fma_f64 v[5:6], v[25:26], v[5:6], v[21:22]
	v_fma_f64 v[29:30], v[27:28], v[7:8], v[5:6]
	ds_read2_b64 v[5:8], v12 offset0:128 offset1:160
	ds_read_b128 v[21:24], v10 offset:32
	ds_read_b128 v[25:28], v10 offset:48
	s_waitcnt lgkmcnt(1)
	v_fma_f64 v[5:6], v[21:22], v[5:6], v[29:30]
	v_fma_f64 v[21:22], v[23:24], v[7:8], v[5:6]
	ds_read2_b64 v[5:8], v12 offset0:192 offset1:224
	s_waitcnt lgkmcnt(0)
	v_fma_f64 v[5:6], v[25:26], v[5:6], v[21:22]
	v_fma_f64 v[29:30], v[27:28], v[7:8], v[5:6]
	ds_read2_b64 v[5:8], v16 offset1:32
	ds_read_b128 v[21:24], v10 offset:64
	ds_read_b128 v[25:28], v10 offset:80
	s_waitcnt lgkmcnt(1)
	v_fma_f64 v[5:6], v[21:22], v[5:6], v[29:30]
	v_fma_f64 v[21:22], v[23:24], v[7:8], v[5:6]
	ds_read2_b64 v[5:8], v16 offset0:64 offset1:96
	s_waitcnt lgkmcnt(0)
	v_fma_f64 v[5:6], v[25:26], v[5:6], v[21:22]
	v_fma_f64 v[29:30], v[27:28], v[7:8], v[5:6]
	ds_read2_b64 v[5:8], v16 offset0:128 offset1:160
	ds_read_b128 v[21:24], v10 offset:96
	ds_read_b128 v[25:28], v10 offset:112
	s_waitcnt lgkmcnt(1)
	v_fma_f64 v[5:6], v[21:22], v[5:6], v[29:30]
	v_fma_f64 v[21:22], v[23:24], v[7:8], v[5:6]
	ds_read2_b64 v[5:8], v16 offset0:192 offset1:224
	s_waitcnt lgkmcnt(0)
	v_fma_f64 v[5:6], v[25:26], v[5:6], v[21:22]
	v_fma_f64 v[29:30], v[27:28], v[7:8], v[5:6]
	ds_read2_b64 v[5:8], v17 offset1:32
	ds_read_b128 v[21:24], v10 offset:128
	ds_read_b128 v[25:28], v10 offset:144
	s_waitcnt lgkmcnt(1)
	v_fma_f64 v[5:6], v[21:22], v[5:6], v[29:30]
	global_load_dwordx2 v[29:30], v[3:4], off
	v_fma_f64 v[21:22], v[23:24], v[7:8], v[5:6]
	ds_read2_b64 v[5:8], v17 offset0:64 offset1:96
	s_waitcnt lgkmcnt(0)
	v_fma_f64 v[5:6], v[25:26], v[5:6], v[21:22]
	v_fma_f64 v[31:32], v[27:28], v[7:8], v[5:6]
	ds_read2_b64 v[5:8], v17 offset0:128 offset1:160
	ds_read_b128 v[21:24], v10 offset:160
	ds_read_b128 v[25:28], v10 offset:176
	s_waitcnt lgkmcnt(1)
	v_fma_f64 v[5:6], v[21:22], v[5:6], v[31:32]
	v_fma_f64 v[21:22], v[23:24], v[7:8], v[5:6]
	ds_read2_b64 v[5:8], v17 offset0:192 offset1:224
	s_waitcnt lgkmcnt(0)
	v_fma_f64 v[5:6], v[25:26], v[5:6], v[21:22]
	v_fma_f64 v[31:32], v[27:28], v[7:8], v[5:6]
	ds_read2_b64 v[5:8], v18 offset1:32
	ds_read_b128 v[21:24], v10 offset:192
	ds_read_b128 v[25:28], v10 offset:208
	s_waitcnt lgkmcnt(1)
	v_fma_f64 v[5:6], v[21:22], v[5:6], v[31:32]
	v_fma_f64 v[21:22], v[23:24], v[7:8], v[5:6]
	ds_read2_b64 v[5:8], v18 offset0:64 offset1:96
	s_waitcnt lgkmcnt(0)
	v_fma_f64 v[5:6], v[25:26], v[5:6], v[21:22]
	v_fma_f64 v[31:32], v[27:28], v[7:8], v[5:6]
	ds_read2_b64 v[5:8], v18 offset0:128 offset1:160
	ds_read_b128 v[21:24], v10 offset:224
	ds_read_b128 v[25:28], v10 offset:240
	s_waitcnt lgkmcnt(1)
	v_fma_f64 v[5:6], v[21:22], v[5:6], v[31:32]
	v_fma_f64 v[21:22], v[23:24], v[7:8], v[5:6]
	ds_read2_b64 v[5:8], v18 offset0:192 offset1:224
	s_waitcnt lgkmcnt(0)
	v_fma_f64 v[5:6], v[25:26], v[5:6], v[21:22]
	v_fma_f64 v[5:6], v[27:28], v[7:8], v[5:6]
	s_waitcnt vmcnt(0)
	v_fma_f64 v[5:6], s[10:11], v[5:6], v[29:30]
	global_store_dwordx2 v[3:4], v[5:6], off
	s_branch .LBB7_6
.LBB7_13:
	s_endpgm
	.section	.rodata,"a",@progbits
	.p2align	6, 0x0
	.amdhsa_kernel _ZL24rocblas_symm_hemm_kernelILb0ELb0ELi32EPKdS1_PdEvbiiT2_T3_lllS4_lllT4_llli
		.amdhsa_group_segment_fixed_size 16384
		.amdhsa_private_segment_fixed_size 0
		.amdhsa_kernarg_size 384
		.amdhsa_user_sgpr_count 6
		.amdhsa_user_sgpr_private_segment_buffer 1
		.amdhsa_user_sgpr_dispatch_ptr 0
		.amdhsa_user_sgpr_queue_ptr 0
		.amdhsa_user_sgpr_kernarg_segment_ptr 1
		.amdhsa_user_sgpr_dispatch_id 0
		.amdhsa_user_sgpr_flat_scratch_init 0
		.amdhsa_user_sgpr_private_segment_size 0
		.amdhsa_wavefront_size32 1
		.amdhsa_uses_dynamic_stack 0
		.amdhsa_system_sgpr_private_segment_wavefront_offset 0
		.amdhsa_system_sgpr_workgroup_id_x 1
		.amdhsa_system_sgpr_workgroup_id_y 1
		.amdhsa_system_sgpr_workgroup_id_z 1
		.amdhsa_system_sgpr_workgroup_info 0
		.amdhsa_system_vgpr_workitem_id 1
		.amdhsa_next_free_vgpr 33
		.amdhsa_next_free_sgpr 44
		.amdhsa_reserve_vcc 1
		.amdhsa_reserve_flat_scratch 0
		.amdhsa_float_round_mode_32 0
		.amdhsa_float_round_mode_16_64 0
		.amdhsa_float_denorm_mode_32 3
		.amdhsa_float_denorm_mode_16_64 3
		.amdhsa_dx10_clamp 1
		.amdhsa_ieee_mode 1
		.amdhsa_fp16_overflow 0
		.amdhsa_workgroup_processor_mode 1
		.amdhsa_memory_ordered 1
		.amdhsa_forward_progress 1
		.amdhsa_shared_vgpr_count 0
		.amdhsa_exception_fp_ieee_invalid_op 0
		.amdhsa_exception_fp_denorm_src 0
		.amdhsa_exception_fp_ieee_div_zero 0
		.amdhsa_exception_fp_ieee_overflow 0
		.amdhsa_exception_fp_ieee_underflow 0
		.amdhsa_exception_fp_ieee_inexact 0
		.amdhsa_exception_int_div_zero 0
	.end_amdhsa_kernel
	.section	.text._ZL24rocblas_symm_hemm_kernelILb0ELb0ELi32EPKdS1_PdEvbiiT2_T3_lllS4_lllT4_llli,"axG",@progbits,_ZL24rocblas_symm_hemm_kernelILb0ELb0ELi32EPKdS1_PdEvbiiT2_T3_lllS4_lllT4_llli,comdat
.Lfunc_end7:
	.size	_ZL24rocblas_symm_hemm_kernelILb0ELb0ELi32EPKdS1_PdEvbiiT2_T3_lllS4_lllT4_llli, .Lfunc_end7-_ZL24rocblas_symm_hemm_kernelILb0ELb0ELi32EPKdS1_PdEvbiiT2_T3_lllS4_lllT4_llli
                                        ; -- End function
	.set _ZL24rocblas_symm_hemm_kernelILb0ELb0ELi32EPKdS1_PdEvbiiT2_T3_lllS4_lllT4_llli.num_vgpr, 33
	.set _ZL24rocblas_symm_hemm_kernelILb0ELb0ELi32EPKdS1_PdEvbiiT2_T3_lllS4_lllT4_llli.num_agpr, 0
	.set _ZL24rocblas_symm_hemm_kernelILb0ELb0ELi32EPKdS1_PdEvbiiT2_T3_lllS4_lllT4_llli.numbered_sgpr, 44
	.set _ZL24rocblas_symm_hemm_kernelILb0ELb0ELi32EPKdS1_PdEvbiiT2_T3_lllS4_lllT4_llli.num_named_barrier, 0
	.set _ZL24rocblas_symm_hemm_kernelILb0ELb0ELi32EPKdS1_PdEvbiiT2_T3_lllS4_lllT4_llli.private_seg_size, 0
	.set _ZL24rocblas_symm_hemm_kernelILb0ELb0ELi32EPKdS1_PdEvbiiT2_T3_lllS4_lllT4_llli.uses_vcc, 1
	.set _ZL24rocblas_symm_hemm_kernelILb0ELb0ELi32EPKdS1_PdEvbiiT2_T3_lllS4_lllT4_llli.uses_flat_scratch, 0
	.set _ZL24rocblas_symm_hemm_kernelILb0ELb0ELi32EPKdS1_PdEvbiiT2_T3_lllS4_lllT4_llli.has_dyn_sized_stack, 0
	.set _ZL24rocblas_symm_hemm_kernelILb0ELb0ELi32EPKdS1_PdEvbiiT2_T3_lllS4_lllT4_llli.has_recursion, 0
	.set _ZL24rocblas_symm_hemm_kernelILb0ELb0ELi32EPKdS1_PdEvbiiT2_T3_lllS4_lllT4_llli.has_indirect_call, 0
	.section	.AMDGPU.csdata,"",@progbits
; Kernel info:
; codeLenInByte = 1440
; TotalNumSgprs: 46
; NumVgprs: 33
; ScratchSize: 0
; MemoryBound: 0
; FloatMode: 240
; IeeeMode: 1
; LDSByteSize: 16384 bytes/workgroup (compile time only)
; SGPRBlocks: 0
; VGPRBlocks: 4
; NumSGPRsForWavesPerEU: 46
; NumVGPRsForWavesPerEU: 33
; Occupancy: 16
; WaveLimiterHint : 0
; COMPUTE_PGM_RSRC2:SCRATCH_EN: 0
; COMPUTE_PGM_RSRC2:USER_SGPR: 6
; COMPUTE_PGM_RSRC2:TRAP_HANDLER: 0
; COMPUTE_PGM_RSRC2:TGID_X_EN: 1
; COMPUTE_PGM_RSRC2:TGID_Y_EN: 1
; COMPUTE_PGM_RSRC2:TGID_Z_EN: 1
; COMPUTE_PGM_RSRC2:TIDIG_COMP_CNT: 1
	.section	.text._ZL24rocblas_symm_hemm_kernelILb0ELb1ELi32EPKdS1_PdEvbiiT2_T3_lllS4_lllT4_llli,"axG",@progbits,_ZL24rocblas_symm_hemm_kernelILb0ELb1ELi32EPKdS1_PdEvbiiT2_T3_lllS4_lllT4_llli,comdat
	.globl	_ZL24rocblas_symm_hemm_kernelILb0ELb1ELi32EPKdS1_PdEvbiiT2_T3_lllS4_lllT4_llli ; -- Begin function _ZL24rocblas_symm_hemm_kernelILb0ELb1ELi32EPKdS1_PdEvbiiT2_T3_lllS4_lllT4_llli
	.p2align	8
	.type	_ZL24rocblas_symm_hemm_kernelILb0ELb1ELi32EPKdS1_PdEvbiiT2_T3_lllS4_lllT4_llli,@function
_ZL24rocblas_symm_hemm_kernelILb0ELb1ELi32EPKdS1_PdEvbiiT2_T3_lllS4_lllT4_llli: ; @_ZL24rocblas_symm_hemm_kernelILb0ELb1ELi32EPKdS1_PdEvbiiT2_T3_lllS4_lllT4_llli
; %bb.0:
	s_load_dwordx16 s[12:27], s[4:5], 0x10
	s_waitcnt lgkmcnt(0)
	s_load_dwordx2 s[10:11], s[12:13], 0x0
	s_waitcnt lgkmcnt(0)
	v_cmp_eq_f64_e64 s0, s[10:11], 0
	s_and_b32 vcc_lo, exec_lo, s0
	s_cbranch_vccnz .LBB8_13
; %bb.1:
	s_load_dwordx4 s[28:31], s[4:5], 0x0
	s_waitcnt lgkmcnt(0)
	s_add_i32 s0, s30, -1
	s_ashr_i32 s1, s0, 31
	s_lshr_b32 s1, s1, 27
	s_add_i32 s0, s0, s1
	s_ashr_i32 s3, s0, 5
	s_cmp_gt_i32 s7, s3
	s_cbranch_scc1 .LBB8_13
; %bb.2:
	s_clause 0x1
	s_load_dwordx2 s[12:13], s[4:5], 0x70
	s_load_dwordx8 s[36:43], s[4:5], 0x50
	s_mul_i32 s1, s21, s8
	s_mul_hi_u32 s2, s20, s8
	s_mul_i32 s0, s20, s8
	s_add_i32 s1, s2, s1
	v_lshl_add_u32 v2, s6, 5, v0
	s_lshl_b64 s[0:1], s[0:1], 3
	s_load_dword s4, s[4:5], 0x84
	s_add_u32 s2, s14, s0
	s_addc_u32 s9, s15, s1
	s_lshl_b64 s[0:1], s[16:17], 3
	v_ashrrev_i32_e32 v3, 31, v2
	s_add_u32 s6, s2, s0
	s_addc_u32 s9, s9, s1
	s_bitcmp1_b32 s28, 0
	v_lshlrev_b32_e32 v5, 3, v1
	s_cselect_b32 s0, -1, 0
	v_lshlrev_b64 v[3:4], 3, v[2:3]
	v_lshlrev_b32_e32 v9, 8, v0
	s_waitcnt lgkmcnt(0)
	s_mul_i32 s1, s13, s8
	s_mul_hi_u32 s2, s12, s8
	s_mul_i32 s12, s12, s8
	s_add_i32 s13, s2, s1
	s_mul_i32 s1, s37, s8
	s_lshl_b64 s[12:13], s[12:13], 3
	s_mul_hi_u32 s2, s36, s8
	s_add_u32 s5, s38, s12
	s_addc_u32 s15, s39, s13
	s_lshl_b64 s[12:13], s[40:41], 3
	s_mul_i32 s14, s36, s8
	s_add_u32 s5, s5, s12
	s_addc_u32 s8, s15, s13
	s_add_i32 s15, s2, s1
	v_or_b32_e32 v10, 0x2000, v5
	s_lshl_b64 s[12:13], s[14:15], 3
	v_add_nc_u32_e32 v13, v9, v5
	s_add_u32 s1, s22, s12
	s_addc_u32 s2, s23, s13
	s_lshl_b64 s[12:13], s[24:25], 3
	v_add_nc_u32_e32 v14, v10, v9
	s_add_u32 s12, s1, s12
	s_addc_u32 s2, s2, s13
	v_add_co_u32 v11, vcc_lo, s12, v3
	v_add_co_ci_u32_e64 v12, null, s2, v4, vcc_lo
	v_add_co_u32 v15, vcc_lo, s5, v3
	v_cmp_gt_i32_e64 s1, s29, v2
	v_add_co_ci_u32_e64 v16, null, s8, v4, vcc_lo
	v_add_nc_u32_e32 v17, 0x800, v10
	v_add_nc_u32_e32 v18, 0x1000, v10
	;; [unrolled: 1-line block ×3, first 2 shown]
	s_cmp_gt_i32 s30, 0
	s_cselect_b32 s5, -1, 0
	s_branch .LBB8_4
.LBB8_3:                                ;   in Loop: Header=BB8_4 Depth=1
	s_add_i32 s7, s7, s4
	s_cmp_gt_i32 s7, s3
	s_cbranch_scc1 .LBB8_13
.LBB8_4:                                ; =>This Loop Header: Depth=1
                                        ;     Child Loop BB8_7 Depth 2
	s_andn2_b32 vcc_lo, exec_lo, s5
	s_cbranch_vccnz .LBB8_3
; %bb.5:                                ;   in Loop: Header=BB8_4 Depth=1
	v_lshl_add_u32 v20, s7, 5, v1
	s_mov_b32 s8, 0
	v_ashrrev_i32_e32 v4, 31, v20
	v_mul_lo_u32 v5, s43, v20
	v_mad_u64_u32 v[2:3], null, s42, v20, 0
	v_cmp_gt_i32_e32 vcc_lo, s30, v20
	v_mul_lo_u32 v4, s42, v4
	v_add3_u32 v3, v3, v4, v5
	v_lshlrev_b64 v[2:3], 3, v[2:3]
	v_add_co_u32 v2, s2, v15, v2
	v_add_co_ci_u32_e64 v3, null, v16, v3, s2
	s_and_b32 s2, s1, vcc_lo
	s_branch .LBB8_7
.LBB8_6:                                ;   in Loop: Header=BB8_7 Depth=2
	s_or_b32 exec_lo, exec_lo, s12
	s_add_i32 s8, s8, 32
	s_waitcnt_vscnt null, 0x0
	s_cmp_ge_i32 s8, s30
	s_barrier
	buffer_gl0_inv
	s_cbranch_scc1 .LBB8_3
.LBB8_7:                                ;   Parent Loop BB8_4 Depth=1
                                        ; =>  This Inner Loop Header: Depth=2
	v_add_nc_u32_e32 v6, s8, v1
	v_mov_b32_e32 v4, 0
	v_mov_b32_e32 v7, 0
	v_mov_b32_e32 v5, 0
	v_mov_b32_e32 v8, 0
	v_cmp_gt_i32_e32 vcc_lo, s30, v6
	s_and_b32 s13, s1, vcc_lo
	s_and_saveexec_b32 s12, s13
	s_cbranch_execz .LBB8_9
; %bb.8:                                ;   in Loop: Header=BB8_7 Depth=2
	v_ashrrev_i32_e32 v8, 31, v6
	v_mul_lo_u32 v21, s27, v6
	v_mad_u64_u32 v[6:7], null, s26, v6, 0
	v_mul_lo_u32 v8, s26, v8
	v_add3_u32 v7, v7, v8, v21
	v_lshlrev_b64 v[6:7], 3, v[6:7]
	v_add_co_u32 v6, vcc_lo, v11, v6
	v_add_co_ci_u32_e64 v7, null, v12, v7, vcc_lo
	global_load_dwordx2 v[7:8], v[6:7], off
.LBB8_9:                                ;   in Loop: Header=BB8_7 Depth=2
	s_or_b32 exec_lo, exec_lo, s12
	v_add_nc_u32_e32 v21, s8, v0
	s_mov_b32 s12, exec_lo
	s_waitcnt vmcnt(0)
	ds_write_b64 v13, v[7:8]
	v_cndmask_b32_e64 v6, v20, v21, s0
	v_cndmask_b32_e64 v22, v21, v20, s0
	v_cmp_gt_i32_e32 vcc_lo, v6, v22
	v_cndmask_b32_e32 v6, v21, v20, vcc_lo
	v_cndmask_b32_e32 v21, v20, v21, vcc_lo
	v_max_i32_e32 v22, v6, v21
	v_cmpx_gt_i32_e64 s30, v22
	s_cbranch_execz .LBB8_11
; %bb.10:                               ;   in Loop: Header=BB8_7 Depth=2
	v_ashrrev_i32_e32 v7, 31, v21
	v_mul_lo_u32 v8, s19, v21
	v_mad_u64_u32 v[4:5], null, s18, v21, 0
	v_mul_lo_u32 v7, s18, v7
	v_add3_u32 v5, v5, v7, v8
	v_ashrrev_i32_e32 v7, 31, v6
	v_lshlrev_b64 v[4:5], 3, v[4:5]
	v_lshlrev_b64 v[6:7], 3, v[6:7]
	v_add_co_u32 v4, vcc_lo, s6, v4
	v_add_co_ci_u32_e64 v5, null, s9, v5, vcc_lo
	v_add_co_u32 v4, vcc_lo, v4, v6
	v_add_co_ci_u32_e64 v5, null, v5, v7, vcc_lo
	global_load_dwordx2 v[4:5], v[4:5], off
.LBB8_11:                               ;   in Loop: Header=BB8_7 Depth=2
	s_or_b32 exec_lo, exec_lo, s12
	s_waitcnt vmcnt(0)
	ds_write_b64 v14, v[4:5]
	s_waitcnt lgkmcnt(0)
	s_barrier
	buffer_gl0_inv
	s_and_saveexec_b32 s12, s2
	s_cbranch_execz .LBB8_6
; %bb.12:                               ;   in Loop: Header=BB8_7 Depth=2
	ds_read2_b64 v[4:7], v10 offset1:32
	ds_read_b128 v[21:24], v9
	ds_read_b128 v[25:28], v9 offset:16
	s_waitcnt lgkmcnt(1)
	v_fma_f64 v[4:5], v[21:22], v[4:5], 0
	v_fma_f64 v[21:22], v[23:24], v[6:7], v[4:5]
	ds_read2_b64 v[4:7], v10 offset0:64 offset1:96
	s_waitcnt lgkmcnt(0)
	v_fma_f64 v[4:5], v[25:26], v[4:5], v[21:22]
	v_fma_f64 v[29:30], v[27:28], v[6:7], v[4:5]
	ds_read2_b64 v[4:7], v10 offset0:128 offset1:160
	ds_read_b128 v[21:24], v9 offset:32
	ds_read_b128 v[25:28], v9 offset:48
	s_waitcnt lgkmcnt(1)
	v_fma_f64 v[4:5], v[21:22], v[4:5], v[29:30]
	v_fma_f64 v[21:22], v[23:24], v[6:7], v[4:5]
	ds_read2_b64 v[4:7], v10 offset0:192 offset1:224
	s_waitcnt lgkmcnt(0)
	v_fma_f64 v[4:5], v[25:26], v[4:5], v[21:22]
	v_fma_f64 v[29:30], v[27:28], v[6:7], v[4:5]
	ds_read2_b64 v[4:7], v17 offset1:32
	ds_read_b128 v[21:24], v9 offset:64
	ds_read_b128 v[25:28], v9 offset:80
	s_waitcnt lgkmcnt(1)
	v_fma_f64 v[4:5], v[21:22], v[4:5], v[29:30]
	v_fma_f64 v[21:22], v[23:24], v[6:7], v[4:5]
	ds_read2_b64 v[4:7], v17 offset0:64 offset1:96
	s_waitcnt lgkmcnt(0)
	v_fma_f64 v[4:5], v[25:26], v[4:5], v[21:22]
	v_fma_f64 v[29:30], v[27:28], v[6:7], v[4:5]
	ds_read2_b64 v[4:7], v17 offset0:128 offset1:160
	ds_read_b128 v[21:24], v9 offset:96
	ds_read_b128 v[25:28], v9 offset:112
	s_waitcnt lgkmcnt(1)
	v_fma_f64 v[4:5], v[21:22], v[4:5], v[29:30]
	v_fma_f64 v[21:22], v[23:24], v[6:7], v[4:5]
	ds_read2_b64 v[4:7], v17 offset0:192 offset1:224
	s_waitcnt lgkmcnt(0)
	v_fma_f64 v[4:5], v[25:26], v[4:5], v[21:22]
	v_fma_f64 v[29:30], v[27:28], v[6:7], v[4:5]
	ds_read2_b64 v[4:7], v18 offset1:32
	ds_read_b128 v[21:24], v9 offset:128
	ds_read_b128 v[25:28], v9 offset:144
	s_waitcnt lgkmcnt(1)
	v_fma_f64 v[4:5], v[21:22], v[4:5], v[29:30]
	global_load_dwordx2 v[29:30], v[2:3], off
	v_fma_f64 v[21:22], v[23:24], v[6:7], v[4:5]
	ds_read2_b64 v[4:7], v18 offset0:64 offset1:96
	s_waitcnt lgkmcnt(0)
	v_fma_f64 v[4:5], v[25:26], v[4:5], v[21:22]
	v_fma_f64 v[31:32], v[27:28], v[6:7], v[4:5]
	ds_read2_b64 v[4:7], v18 offset0:128 offset1:160
	ds_read_b128 v[21:24], v9 offset:160
	ds_read_b128 v[25:28], v9 offset:176
	s_waitcnt lgkmcnt(1)
	v_fma_f64 v[4:5], v[21:22], v[4:5], v[31:32]
	v_fma_f64 v[21:22], v[23:24], v[6:7], v[4:5]
	ds_read2_b64 v[4:7], v18 offset0:192 offset1:224
	s_waitcnt lgkmcnt(0)
	v_fma_f64 v[4:5], v[25:26], v[4:5], v[21:22]
	v_fma_f64 v[31:32], v[27:28], v[6:7], v[4:5]
	ds_read2_b64 v[4:7], v19 offset1:32
	ds_read_b128 v[21:24], v9 offset:192
	ds_read_b128 v[25:28], v9 offset:208
	s_waitcnt lgkmcnt(1)
	v_fma_f64 v[4:5], v[21:22], v[4:5], v[31:32]
	v_fma_f64 v[21:22], v[23:24], v[6:7], v[4:5]
	ds_read2_b64 v[4:7], v19 offset0:64 offset1:96
	s_waitcnt lgkmcnt(0)
	v_fma_f64 v[4:5], v[25:26], v[4:5], v[21:22]
	v_fma_f64 v[31:32], v[27:28], v[6:7], v[4:5]
	ds_read2_b64 v[4:7], v19 offset0:128 offset1:160
	ds_read_b128 v[21:24], v9 offset:224
	ds_read_b128 v[25:28], v9 offset:240
	s_waitcnt lgkmcnt(1)
	v_fma_f64 v[4:5], v[21:22], v[4:5], v[31:32]
	v_fma_f64 v[21:22], v[23:24], v[6:7], v[4:5]
	ds_read2_b64 v[4:7], v19 offset0:192 offset1:224
	s_waitcnt lgkmcnt(0)
	v_fma_f64 v[4:5], v[25:26], v[4:5], v[21:22]
	v_fma_f64 v[4:5], v[27:28], v[6:7], v[4:5]
	s_waitcnt vmcnt(0)
	v_fma_f64 v[4:5], s[10:11], v[4:5], v[29:30]
	global_store_dwordx2 v[2:3], v[4:5], off
	s_branch .LBB8_6
.LBB8_13:
	s_endpgm
	.section	.rodata,"a",@progbits
	.p2align	6, 0x0
	.amdhsa_kernel _ZL24rocblas_symm_hemm_kernelILb0ELb1ELi32EPKdS1_PdEvbiiT2_T3_lllS4_lllT4_llli
		.amdhsa_group_segment_fixed_size 16384
		.amdhsa_private_segment_fixed_size 0
		.amdhsa_kernarg_size 384
		.amdhsa_user_sgpr_count 6
		.amdhsa_user_sgpr_private_segment_buffer 1
		.amdhsa_user_sgpr_dispatch_ptr 0
		.amdhsa_user_sgpr_queue_ptr 0
		.amdhsa_user_sgpr_kernarg_segment_ptr 1
		.amdhsa_user_sgpr_dispatch_id 0
		.amdhsa_user_sgpr_flat_scratch_init 0
		.amdhsa_user_sgpr_private_segment_size 0
		.amdhsa_wavefront_size32 1
		.amdhsa_uses_dynamic_stack 0
		.amdhsa_system_sgpr_private_segment_wavefront_offset 0
		.amdhsa_system_sgpr_workgroup_id_x 1
		.amdhsa_system_sgpr_workgroup_id_y 1
		.amdhsa_system_sgpr_workgroup_id_z 1
		.amdhsa_system_sgpr_workgroup_info 0
		.amdhsa_system_vgpr_workitem_id 1
		.amdhsa_next_free_vgpr 33
		.amdhsa_next_free_sgpr 44
		.amdhsa_reserve_vcc 1
		.amdhsa_reserve_flat_scratch 0
		.amdhsa_float_round_mode_32 0
		.amdhsa_float_round_mode_16_64 0
		.amdhsa_float_denorm_mode_32 3
		.amdhsa_float_denorm_mode_16_64 3
		.amdhsa_dx10_clamp 1
		.amdhsa_ieee_mode 1
		.amdhsa_fp16_overflow 0
		.amdhsa_workgroup_processor_mode 1
		.amdhsa_memory_ordered 1
		.amdhsa_forward_progress 1
		.amdhsa_shared_vgpr_count 0
		.amdhsa_exception_fp_ieee_invalid_op 0
		.amdhsa_exception_fp_denorm_src 0
		.amdhsa_exception_fp_ieee_div_zero 0
		.amdhsa_exception_fp_ieee_overflow 0
		.amdhsa_exception_fp_ieee_underflow 0
		.amdhsa_exception_fp_ieee_inexact 0
		.amdhsa_exception_int_div_zero 0
	.end_amdhsa_kernel
	.section	.text._ZL24rocblas_symm_hemm_kernelILb0ELb1ELi32EPKdS1_PdEvbiiT2_T3_lllS4_lllT4_llli,"axG",@progbits,_ZL24rocblas_symm_hemm_kernelILb0ELb1ELi32EPKdS1_PdEvbiiT2_T3_lllS4_lllT4_llli,comdat
.Lfunc_end8:
	.size	_ZL24rocblas_symm_hemm_kernelILb0ELb1ELi32EPKdS1_PdEvbiiT2_T3_lllS4_lllT4_llli, .Lfunc_end8-_ZL24rocblas_symm_hemm_kernelILb0ELb1ELi32EPKdS1_PdEvbiiT2_T3_lllS4_lllT4_llli
                                        ; -- End function
	.set _ZL24rocblas_symm_hemm_kernelILb0ELb1ELi32EPKdS1_PdEvbiiT2_T3_lllS4_lllT4_llli.num_vgpr, 33
	.set _ZL24rocblas_symm_hemm_kernelILb0ELb1ELi32EPKdS1_PdEvbiiT2_T3_lllS4_lllT4_llli.num_agpr, 0
	.set _ZL24rocblas_symm_hemm_kernelILb0ELb1ELi32EPKdS1_PdEvbiiT2_T3_lllS4_lllT4_llli.numbered_sgpr, 44
	.set _ZL24rocblas_symm_hemm_kernelILb0ELb1ELi32EPKdS1_PdEvbiiT2_T3_lllS4_lllT4_llli.num_named_barrier, 0
	.set _ZL24rocblas_symm_hemm_kernelILb0ELb1ELi32EPKdS1_PdEvbiiT2_T3_lllS4_lllT4_llli.private_seg_size, 0
	.set _ZL24rocblas_symm_hemm_kernelILb0ELb1ELi32EPKdS1_PdEvbiiT2_T3_lllS4_lllT4_llli.uses_vcc, 1
	.set _ZL24rocblas_symm_hemm_kernelILb0ELb1ELi32EPKdS1_PdEvbiiT2_T3_lllS4_lllT4_llli.uses_flat_scratch, 0
	.set _ZL24rocblas_symm_hemm_kernelILb0ELb1ELi32EPKdS1_PdEvbiiT2_T3_lllS4_lllT4_llli.has_dyn_sized_stack, 0
	.set _ZL24rocblas_symm_hemm_kernelILb0ELb1ELi32EPKdS1_PdEvbiiT2_T3_lllS4_lllT4_llli.has_recursion, 0
	.set _ZL24rocblas_symm_hemm_kernelILb0ELb1ELi32EPKdS1_PdEvbiiT2_T3_lllS4_lllT4_llli.has_indirect_call, 0
	.section	.AMDGPU.csdata,"",@progbits
; Kernel info:
; codeLenInByte = 1416
; TotalNumSgprs: 46
; NumVgprs: 33
; ScratchSize: 0
; MemoryBound: 0
; FloatMode: 240
; IeeeMode: 1
; LDSByteSize: 16384 bytes/workgroup (compile time only)
; SGPRBlocks: 0
; VGPRBlocks: 4
; NumSGPRsForWavesPerEU: 46
; NumVGPRsForWavesPerEU: 33
; Occupancy: 16
; WaveLimiterHint : 0
; COMPUTE_PGM_RSRC2:SCRATCH_EN: 0
; COMPUTE_PGM_RSRC2:USER_SGPR: 6
; COMPUTE_PGM_RSRC2:TRAP_HANDLER: 0
; COMPUTE_PGM_RSRC2:TGID_X_EN: 1
; COMPUTE_PGM_RSRC2:TGID_Y_EN: 1
; COMPUTE_PGM_RSRC2:TGID_Z_EN: 1
; COMPUTE_PGM_RSRC2:TIDIG_COMP_CNT: 1
	.section	.text._ZL25rocblas_symm_scale_kernelILi128ELi8EdPdEviiT1_T2_llli,"axG",@progbits,_ZL25rocblas_symm_scale_kernelILi128ELi8EdPdEviiT1_T2_llli,comdat
	.globl	_ZL25rocblas_symm_scale_kernelILi128ELi8EdPdEviiT1_T2_llli ; -- Begin function _ZL25rocblas_symm_scale_kernelILi128ELi8EdPdEviiT1_T2_llli
	.p2align	8
	.type	_ZL25rocblas_symm_scale_kernelILi128ELi8EdPdEviiT1_T2_llli,@function
_ZL25rocblas_symm_scale_kernelILi128ELi8EdPdEviiT1_T2_llli: ; @_ZL25rocblas_symm_scale_kernelILi128ELi8EdPdEviiT1_T2_llli
; %bb.0:
	s_load_dwordx8 s[12:19], s[4:5], 0x8
	s_waitcnt lgkmcnt(0)
	v_cmp_eq_f64_e64 s0, s[12:13], 1.0
	s_and_b32 vcc_lo, exec_lo, s0
	s_cbranch_vccnz .LBB9_7
; %bb.1:
	s_load_dwordx2 s[0:1], s[4:5], 0x0
	v_lshl_add_u32 v1, s7, 3, v1
	v_mov_b32_e32 v2, 0
	v_lshl_add_u32 v3, s6, 7, v0
	s_waitcnt lgkmcnt(0)
	s_ashr_i32 s3, s1, 31
	s_mov_b32 s2, s1
	v_cmp_gt_u32_e64 s0, s0, v3
	v_cmp_gt_i64_e32 vcc_lo, s[2:3], v[1:2]
	s_and_b32 s0, s0, vcc_lo
	s_and_saveexec_b32 s1, s0
	s_cbranch_execz .LBB9_7
; %bb.2:
	s_clause 0x1
	s_load_dword s0, s[4:5], 0x3c
	s_load_dwordx2 s[4:5], s[4:5], 0x28
	v_mad_u64_u32 v[5:6], null, s18, v1, 0
	s_lshl_b64 s[6:7], s[16:17], 3
	v_mov_b32_e32 v4, v2
	v_lshlrev_b64 v[3:4], 3, v[3:4]
	v_mov_b32_e32 v0, v6
	v_mad_u64_u32 v[6:7], null, s19, v1, v[0:1]
	s_waitcnt lgkmcnt(0)
	s_lshl_b32 s1, s0, 3
	s_mul_i32 s0, s5, s8
	s_mul_hi_u32 s5, s4, s8
	s_mul_i32 s4, s4, s8
	s_add_i32 s5, s5, s0
	v_lshlrev_b64 v[5:6], 3, v[5:6]
	s_lshl_b64 s[4:5], s[4:5], 3
	s_mul_i32 s0, s19, s1
	s_add_u32 s4, s6, s4
	v_cmp_neq_f64_e64 s6, s[12:13], 0
	s_addc_u32 s5, s7, s5
	v_add_co_u32 v0, vcc_lo, s4, v5
	v_add_co_ci_u32_e64 v5, null, s5, v6, vcc_lo
	s_mul_hi_u32 s4, s18, s1
	v_add_co_u32 v0, vcc_lo, v0, v3
	v_add_co_ci_u32_e64 v4, null, v5, v4, vcc_lo
	s_add_i32 s5, s4, s0
	v_add_co_u32 v3, vcc_lo, s14, v0
	v_add_co_ci_u32_e64 v4, null, s15, v4, vcc_lo
	s_mul_i32 s4, s18, s1
	s_mov_b32 s7, 0
	s_lshl_b64 s[4:5], s[4:5], 3
	s_branch .LBB9_5
	.p2align	6
.LBB9_3:                                ;   in Loop: Header=BB9_5 Depth=1
	global_load_dwordx2 v[5:6], v[3:4], off
	s_waitcnt vmcnt(0)
	v_mul_f64 v[5:6], s[12:13], v[5:6]
.LBB9_4:                                ;   in Loop: Header=BB9_5 Depth=1
	v_add_co_u32 v1, vcc_lo, v1, s1
	v_add_co_ci_u32_e64 v2, null, 0, v2, vcc_lo
	global_store_dwordx2 v[3:4], v[5:6], off
	v_add_co_u32 v3, s0, v3, s4
	v_cmp_le_i64_e32 vcc_lo, s[2:3], v[1:2]
	v_add_co_ci_u32_e64 v4, null, s5, v4, s0
	s_or_b32 s7, vcc_lo, s7
	s_andn2_b32 exec_lo, exec_lo, s7
	s_cbranch_execz .LBB9_7
.LBB9_5:                                ; =>This Inner Loop Header: Depth=1
	s_andn2_b32 vcc_lo, exec_lo, s6
	s_cbranch_vccz .LBB9_3
; %bb.6:                                ;   in Loop: Header=BB9_5 Depth=1
	v_mov_b32_e32 v5, 0
	v_mov_b32_e32 v6, 0
	s_branch .LBB9_4
.LBB9_7:
	s_endpgm
	.section	.rodata,"a",@progbits
	.p2align	6, 0x0
	.amdhsa_kernel _ZL25rocblas_symm_scale_kernelILi128ELi8EdPdEviiT1_T2_llli
		.amdhsa_group_segment_fixed_size 0
		.amdhsa_private_segment_fixed_size 0
		.amdhsa_kernarg_size 312
		.amdhsa_user_sgpr_count 6
		.amdhsa_user_sgpr_private_segment_buffer 1
		.amdhsa_user_sgpr_dispatch_ptr 0
		.amdhsa_user_sgpr_queue_ptr 0
		.amdhsa_user_sgpr_kernarg_segment_ptr 1
		.amdhsa_user_sgpr_dispatch_id 0
		.amdhsa_user_sgpr_flat_scratch_init 0
		.amdhsa_user_sgpr_private_segment_size 0
		.amdhsa_wavefront_size32 1
		.amdhsa_uses_dynamic_stack 0
		.amdhsa_system_sgpr_private_segment_wavefront_offset 0
		.amdhsa_system_sgpr_workgroup_id_x 1
		.amdhsa_system_sgpr_workgroup_id_y 1
		.amdhsa_system_sgpr_workgroup_id_z 1
		.amdhsa_system_sgpr_workgroup_info 0
		.amdhsa_system_vgpr_workitem_id 1
		.amdhsa_next_free_vgpr 8
		.amdhsa_next_free_sgpr 20
		.amdhsa_reserve_vcc 1
		.amdhsa_reserve_flat_scratch 0
		.amdhsa_float_round_mode_32 0
		.amdhsa_float_round_mode_16_64 0
		.amdhsa_float_denorm_mode_32 3
		.amdhsa_float_denorm_mode_16_64 3
		.amdhsa_dx10_clamp 1
		.amdhsa_ieee_mode 1
		.amdhsa_fp16_overflow 0
		.amdhsa_workgroup_processor_mode 1
		.amdhsa_memory_ordered 1
		.amdhsa_forward_progress 1
		.amdhsa_shared_vgpr_count 0
		.amdhsa_exception_fp_ieee_invalid_op 0
		.amdhsa_exception_fp_denorm_src 0
		.amdhsa_exception_fp_ieee_div_zero 0
		.amdhsa_exception_fp_ieee_overflow 0
		.amdhsa_exception_fp_ieee_underflow 0
		.amdhsa_exception_fp_ieee_inexact 0
		.amdhsa_exception_int_div_zero 0
	.end_amdhsa_kernel
	.section	.text._ZL25rocblas_symm_scale_kernelILi128ELi8EdPdEviiT1_T2_llli,"axG",@progbits,_ZL25rocblas_symm_scale_kernelILi128ELi8EdPdEviiT1_T2_llli,comdat
.Lfunc_end9:
	.size	_ZL25rocblas_symm_scale_kernelILi128ELi8EdPdEviiT1_T2_llli, .Lfunc_end9-_ZL25rocblas_symm_scale_kernelILi128ELi8EdPdEviiT1_T2_llli
                                        ; -- End function
	.set _ZL25rocblas_symm_scale_kernelILi128ELi8EdPdEviiT1_T2_llli.num_vgpr, 8
	.set _ZL25rocblas_symm_scale_kernelILi128ELi8EdPdEviiT1_T2_llli.num_agpr, 0
	.set _ZL25rocblas_symm_scale_kernelILi128ELi8EdPdEviiT1_T2_llli.numbered_sgpr, 20
	.set _ZL25rocblas_symm_scale_kernelILi128ELi8EdPdEviiT1_T2_llli.num_named_barrier, 0
	.set _ZL25rocblas_symm_scale_kernelILi128ELi8EdPdEviiT1_T2_llli.private_seg_size, 0
	.set _ZL25rocblas_symm_scale_kernelILi128ELi8EdPdEviiT1_T2_llli.uses_vcc, 1
	.set _ZL25rocblas_symm_scale_kernelILi128ELi8EdPdEviiT1_T2_llli.uses_flat_scratch, 0
	.set _ZL25rocblas_symm_scale_kernelILi128ELi8EdPdEviiT1_T2_llli.has_dyn_sized_stack, 0
	.set _ZL25rocblas_symm_scale_kernelILi128ELi8EdPdEviiT1_T2_llli.has_recursion, 0
	.set _ZL25rocblas_symm_scale_kernelILi128ELi8EdPdEviiT1_T2_llli.has_indirect_call, 0
	.section	.AMDGPU.csdata,"",@progbits
; Kernel info:
; codeLenInByte = 420
; TotalNumSgprs: 22
; NumVgprs: 8
; ScratchSize: 0
; MemoryBound: 1
; FloatMode: 240
; IeeeMode: 1
; LDSByteSize: 0 bytes/workgroup (compile time only)
; SGPRBlocks: 0
; VGPRBlocks: 0
; NumSGPRsForWavesPerEU: 22
; NumVGPRsForWavesPerEU: 8
; Occupancy: 16
; WaveLimiterHint : 0
; COMPUTE_PGM_RSRC2:SCRATCH_EN: 0
; COMPUTE_PGM_RSRC2:USER_SGPR: 6
; COMPUTE_PGM_RSRC2:TRAP_HANDLER: 0
; COMPUTE_PGM_RSRC2:TGID_X_EN: 1
; COMPUTE_PGM_RSRC2:TGID_Y_EN: 1
; COMPUTE_PGM_RSRC2:TGID_Z_EN: 1
; COMPUTE_PGM_RSRC2:TIDIG_COMP_CNT: 1
	.section	.text._ZL24rocblas_symm_hemm_kernelILb0ELb0ELi32EdPKdPdEvbiiT2_T3_lllS4_lllT4_llli,"axG",@progbits,_ZL24rocblas_symm_hemm_kernelILb0ELb0ELi32EdPKdPdEvbiiT2_T3_lllS4_lllT4_llli,comdat
	.globl	_ZL24rocblas_symm_hemm_kernelILb0ELb0ELi32EdPKdPdEvbiiT2_T3_lllS4_lllT4_llli ; -- Begin function _ZL24rocblas_symm_hemm_kernelILb0ELb0ELi32EdPKdPdEvbiiT2_T3_lllS4_lllT4_llli
	.p2align	8
	.type	_ZL24rocblas_symm_hemm_kernelILb0ELb0ELi32EdPKdPdEvbiiT2_T3_lllS4_lllT4_llli,@function
_ZL24rocblas_symm_hemm_kernelILb0ELb0ELi32EdPKdPdEvbiiT2_T3_lllS4_lllT4_llli: ; @_ZL24rocblas_symm_hemm_kernelILb0ELb0ELi32EdPKdPdEvbiiT2_T3_lllS4_lllT4_llli
; %bb.0:
	s_load_dwordx16 s[12:27], s[4:5], 0x10
	s_waitcnt lgkmcnt(0)
	v_cmp_eq_f64_e64 s0, s[12:13], 0
	s_and_b32 vcc_lo, exec_lo, s0
	s_cbranch_vccnz .LBB10_13
; %bb.1:
	s_load_dwordx4 s[28:31], s[4:5], 0x0
	s_waitcnt lgkmcnt(0)
	s_add_i32 s0, s30, -1
	s_ashr_i32 s1, s0, 31
	s_lshr_b32 s1, s1, 27
	s_add_i32 s0, s0, s1
	s_ashr_i32 s3, s0, 5
	s_cmp_gt_i32 s7, s3
	s_cbranch_scc1 .LBB10_13
; %bb.2:
	s_clause 0x1
	s_load_dwordx8 s[36:43], s[4:5], 0x50
	s_load_dwordx2 s[0:1], s[4:5], 0x70
	s_mul_i32 s2, s21, s8
	s_mul_hi_u32 s9, s20, s8
	s_mul_i32 s10, s20, s8
	s_add_i32 s11, s9, s2
	v_lshl_add_u32 v2, s6, 5, v0
	s_lshl_b64 s[10:11], s[10:11], 3
	s_load_dword s4, s[4:5], 0x84
	s_add_u32 s2, s14, s10
	s_addc_u32 s6, s15, s11
	s_lshl_b64 s[10:11], s[16:17], 3
	v_lshlrev_b32_e32 v10, 8, v0
	s_add_u32 s5, s2, s10
	s_addc_u32 s6, s6, s11
	v_lshlrev_b32_e32 v4, 3, v1
	v_ashrrev_i32_e32 v3, 31, v2
	v_add_nc_u32_e32 v11, v10, v4
	s_waitcnt lgkmcnt(0)
	s_mul_i32 s2, s37, s8
	s_mul_hi_u32 s9, s36, s8
	s_mul_i32 s10, s36, s8
	s_add_i32 s11, s9, s2
	s_mul_i32 s1, s1, s8
	s_lshl_b64 s[10:11], s[10:11], 3
	s_mul_hi_u32 s15, s0, s8
	s_add_u32 s2, s22, s10
	s_addc_u32 s14, s23, s11
	s_lshl_b64 s[10:11], s[24:25], 3
	v_or_b32_e32 v12, 0x2000, v4
	s_add_u32 s9, s2, s10
	s_addc_u32 s10, s14, s11
	s_bitcmp1_b32 s28, 0
	s_mul_i32 s14, s0, s8
	s_cselect_b32 s0, -1, 0
	s_add_i32 s15, s15, s1
	v_lshlrev_b64 v[3:4], 3, v[2:3]
	s_lshl_b64 s[14:15], s[14:15], 3
	v_add_nc_u32_e32 v13, v12, v10
	s_add_u32 s1, s38, s14
	s_addc_u32 s2, s39, s15
	s_lshl_b64 s[14:15], s[40:41], 3
	v_add_nc_u32_e32 v16, 0x800, v12
	s_add_u32 s8, s1, s14
	s_addc_u32 s2, s2, s15
	v_add_co_u32 v14, vcc_lo, s8, v3
	v_cmp_gt_i32_e64 s1, s29, v2
	v_add_co_ci_u32_e64 v15, null, s2, v4, vcc_lo
	v_add_nc_u32_e32 v17, 0x1000, v12
	v_add_nc_u32_e32 v18, 0x1800, v12
	s_cmp_gt_i32 s29, 0
	s_cselect_b32 s8, -1, 0
	s_branch .LBB10_4
.LBB10_3:                               ;   in Loop: Header=BB10_4 Depth=1
	s_add_i32 s7, s7, s4
	s_cmp_gt_i32 s7, s3
	s_cbranch_scc1 .LBB10_13
.LBB10_4:                               ; =>This Loop Header: Depth=1
                                        ;     Child Loop BB10_7 Depth 2
	s_andn2_b32 vcc_lo, exec_lo, s8
	s_cbranch_vccnz .LBB10_3
; %bb.5:                                ;   in Loop: Header=BB10_4 Depth=1
	v_lshl_add_u32 v7, s7, 5, v1
	s_mov_b32 s14, 0
	v_ashrrev_i32_e32 v8, 31, v7
	v_mul_lo_u32 v9, s27, v7
	v_mad_u64_u32 v[3:4], null, s26, v7, 0
	v_mul_lo_u32 v20, s43, v7
	v_mul_lo_u32 v19, s26, v8
	v_mad_u64_u32 v[5:6], null, s42, v7, 0
	v_mul_lo_u32 v8, s42, v8
	v_cmp_gt_i32_e32 vcc_lo, s30, v7
	v_add3_u32 v4, v4, v19, v9
	s_and_b32 s11, s1, vcc_lo
	v_add3_u32 v6, v6, v8, v20
	v_lshlrev_b64 v[3:4], 3, v[3:4]
	v_lshlrev_b64 v[5:6], 3, v[5:6]
	v_add_co_u32 v19, s2, s9, v3
	v_add_co_ci_u32_e64 v20, null, s10, v4, s2
	v_add_co_u32 v3, s2, v14, v5
	v_add_co_ci_u32_e64 v4, null, v15, v6, s2
	s_branch .LBB10_7
.LBB10_6:                               ;   in Loop: Header=BB10_7 Depth=2
	s_or_b32 exec_lo, exec_lo, s2
	s_add_i32 s14, s14, 32
	s_waitcnt_vscnt null, 0x0
	s_cmp_ge_i32 s14, s29
	s_barrier
	buffer_gl0_inv
	s_cbranch_scc1 .LBB10_3
.LBB10_7:                               ;   Parent Loop BB10_4 Depth=1
                                        ; =>  This Inner Loop Header: Depth=2
	v_add_nc_u32_e32 v5, s14, v1
	v_mov_b32_e32 v8, 0
	v_mov_b32_e32 v9, 0
	s_mov_b32 s15, exec_lo
	v_cndmask_b32_e64 v6, v5, v2, s0
	v_cndmask_b32_e64 v7, v2, v5, s0
	v_cmp_gt_i32_e64 s2, v6, v7
	v_cndmask_b32_e64 v7, v2, v5, s2
	v_cndmask_b32_e64 v21, v5, v2, s2
	v_mov_b32_e32 v5, 0
	v_mov_b32_e32 v6, 0
	v_max_i32_e32 v22, v7, v21
	v_cmpx_gt_i32_e64 s29, v22
	s_cbranch_execz .LBB10_9
; %bb.8:                                ;   in Loop: Header=BB10_7 Depth=2
	v_ashrrev_i32_e32 v8, 31, v21
	v_mul_lo_u32 v9, s19, v21
	v_mad_u64_u32 v[21:22], null, s18, v21, 0
	v_mul_lo_u32 v8, s18, v8
	v_add3_u32 v22, v22, v8, v9
	v_ashrrev_i32_e32 v8, 31, v7
	v_lshlrev_b64 v[21:22], 3, v[21:22]
	v_lshlrev_b64 v[7:8], 3, v[7:8]
	v_add_co_u32 v9, s2, s5, v21
	v_add_co_ci_u32_e64 v21, null, s6, v22, s2
	v_add_co_u32 v7, s2, v9, v7
	v_add_co_ci_u32_e64 v8, null, v21, v8, s2
	global_load_dwordx2 v[8:9], v[7:8], off
.LBB10_9:                               ;   in Loop: Header=BB10_7 Depth=2
	s_or_b32 exec_lo, exec_lo, s15
	v_add_nc_u32_e32 v7, s14, v0
	s_waitcnt vmcnt(0)
	ds_write_b64 v11, v[8:9]
	v_cmp_gt_i32_e64 s2, s29, v7
	s_and_b32 s2, s2, vcc_lo
	s_and_saveexec_b32 s15, s2
	s_cbranch_execz .LBB10_11
; %bb.10:                               ;   in Loop: Header=BB10_7 Depth=2
	v_ashrrev_i32_e32 v8, 31, v7
	v_lshlrev_b64 v[5:6], 3, v[7:8]
	v_add_co_u32 v5, s2, v19, v5
	v_add_co_ci_u32_e64 v6, null, v20, v6, s2
	global_load_dwordx2 v[5:6], v[5:6], off
.LBB10_11:                              ;   in Loop: Header=BB10_7 Depth=2
	s_or_b32 exec_lo, exec_lo, s15
	s_waitcnt vmcnt(0)
	ds_write_b64 v13, v[5:6]
	s_waitcnt lgkmcnt(0)
	s_barrier
	buffer_gl0_inv
	s_and_saveexec_b32 s2, s11
	s_cbranch_execz .LBB10_6
; %bb.12:                               ;   in Loop: Header=BB10_7 Depth=2
	ds_read2_b64 v[5:8], v12 offset1:32
	ds_read_b128 v[21:24], v10
	ds_read_b128 v[25:28], v10 offset:16
	s_waitcnt lgkmcnt(1)
	v_fma_f64 v[5:6], v[21:22], v[5:6], 0
	v_fma_f64 v[21:22], v[23:24], v[7:8], v[5:6]
	ds_read2_b64 v[5:8], v12 offset0:64 offset1:96
	s_waitcnt lgkmcnt(0)
	v_fma_f64 v[5:6], v[25:26], v[5:6], v[21:22]
	v_fma_f64 v[29:30], v[27:28], v[7:8], v[5:6]
	ds_read2_b64 v[5:8], v12 offset0:128 offset1:160
	ds_read_b128 v[21:24], v10 offset:32
	ds_read_b128 v[25:28], v10 offset:48
	s_waitcnt lgkmcnt(1)
	v_fma_f64 v[5:6], v[21:22], v[5:6], v[29:30]
	v_fma_f64 v[21:22], v[23:24], v[7:8], v[5:6]
	ds_read2_b64 v[5:8], v12 offset0:192 offset1:224
	s_waitcnt lgkmcnt(0)
	v_fma_f64 v[5:6], v[25:26], v[5:6], v[21:22]
	v_fma_f64 v[29:30], v[27:28], v[7:8], v[5:6]
	ds_read2_b64 v[5:8], v16 offset1:32
	ds_read_b128 v[21:24], v10 offset:64
	ds_read_b128 v[25:28], v10 offset:80
	s_waitcnt lgkmcnt(1)
	v_fma_f64 v[5:6], v[21:22], v[5:6], v[29:30]
	v_fma_f64 v[21:22], v[23:24], v[7:8], v[5:6]
	ds_read2_b64 v[5:8], v16 offset0:64 offset1:96
	s_waitcnt lgkmcnt(0)
	v_fma_f64 v[5:6], v[25:26], v[5:6], v[21:22]
	v_fma_f64 v[29:30], v[27:28], v[7:8], v[5:6]
	ds_read2_b64 v[5:8], v16 offset0:128 offset1:160
	ds_read_b128 v[21:24], v10 offset:96
	ds_read_b128 v[25:28], v10 offset:112
	s_waitcnt lgkmcnt(1)
	v_fma_f64 v[5:6], v[21:22], v[5:6], v[29:30]
	v_fma_f64 v[21:22], v[23:24], v[7:8], v[5:6]
	ds_read2_b64 v[5:8], v16 offset0:192 offset1:224
	s_waitcnt lgkmcnt(0)
	v_fma_f64 v[5:6], v[25:26], v[5:6], v[21:22]
	v_fma_f64 v[29:30], v[27:28], v[7:8], v[5:6]
	ds_read2_b64 v[5:8], v17 offset1:32
	ds_read_b128 v[21:24], v10 offset:128
	ds_read_b128 v[25:28], v10 offset:144
	s_waitcnt lgkmcnt(1)
	v_fma_f64 v[5:6], v[21:22], v[5:6], v[29:30]
	global_load_dwordx2 v[29:30], v[3:4], off
	v_fma_f64 v[21:22], v[23:24], v[7:8], v[5:6]
	ds_read2_b64 v[5:8], v17 offset0:64 offset1:96
	s_waitcnt lgkmcnt(0)
	v_fma_f64 v[5:6], v[25:26], v[5:6], v[21:22]
	v_fma_f64 v[31:32], v[27:28], v[7:8], v[5:6]
	ds_read2_b64 v[5:8], v17 offset0:128 offset1:160
	ds_read_b128 v[21:24], v10 offset:160
	ds_read_b128 v[25:28], v10 offset:176
	s_waitcnt lgkmcnt(1)
	v_fma_f64 v[5:6], v[21:22], v[5:6], v[31:32]
	v_fma_f64 v[21:22], v[23:24], v[7:8], v[5:6]
	ds_read2_b64 v[5:8], v17 offset0:192 offset1:224
	s_waitcnt lgkmcnt(0)
	v_fma_f64 v[5:6], v[25:26], v[5:6], v[21:22]
	v_fma_f64 v[31:32], v[27:28], v[7:8], v[5:6]
	ds_read2_b64 v[5:8], v18 offset1:32
	ds_read_b128 v[21:24], v10 offset:192
	ds_read_b128 v[25:28], v10 offset:208
	s_waitcnt lgkmcnt(1)
	v_fma_f64 v[5:6], v[21:22], v[5:6], v[31:32]
	v_fma_f64 v[21:22], v[23:24], v[7:8], v[5:6]
	ds_read2_b64 v[5:8], v18 offset0:64 offset1:96
	s_waitcnt lgkmcnt(0)
	v_fma_f64 v[5:6], v[25:26], v[5:6], v[21:22]
	v_fma_f64 v[31:32], v[27:28], v[7:8], v[5:6]
	ds_read2_b64 v[5:8], v18 offset0:128 offset1:160
	ds_read_b128 v[21:24], v10 offset:224
	ds_read_b128 v[25:28], v10 offset:240
	s_waitcnt lgkmcnt(1)
	v_fma_f64 v[5:6], v[21:22], v[5:6], v[31:32]
	v_fma_f64 v[21:22], v[23:24], v[7:8], v[5:6]
	ds_read2_b64 v[5:8], v18 offset0:192 offset1:224
	s_waitcnt lgkmcnt(0)
	v_fma_f64 v[5:6], v[25:26], v[5:6], v[21:22]
	v_fma_f64 v[5:6], v[27:28], v[7:8], v[5:6]
	s_waitcnt vmcnt(0)
	v_fma_f64 v[5:6], s[12:13], v[5:6], v[29:30]
	global_store_dwordx2 v[3:4], v[5:6], off
	s_branch .LBB10_6
.LBB10_13:
	s_endpgm
	.section	.rodata,"a",@progbits
	.p2align	6, 0x0
	.amdhsa_kernel _ZL24rocblas_symm_hemm_kernelILb0ELb0ELi32EdPKdPdEvbiiT2_T3_lllS4_lllT4_llli
		.amdhsa_group_segment_fixed_size 16384
		.amdhsa_private_segment_fixed_size 0
		.amdhsa_kernarg_size 384
		.amdhsa_user_sgpr_count 6
		.amdhsa_user_sgpr_private_segment_buffer 1
		.amdhsa_user_sgpr_dispatch_ptr 0
		.amdhsa_user_sgpr_queue_ptr 0
		.amdhsa_user_sgpr_kernarg_segment_ptr 1
		.amdhsa_user_sgpr_dispatch_id 0
		.amdhsa_user_sgpr_flat_scratch_init 0
		.amdhsa_user_sgpr_private_segment_size 0
		.amdhsa_wavefront_size32 1
		.amdhsa_uses_dynamic_stack 0
		.amdhsa_system_sgpr_private_segment_wavefront_offset 0
		.amdhsa_system_sgpr_workgroup_id_x 1
		.amdhsa_system_sgpr_workgroup_id_y 1
		.amdhsa_system_sgpr_workgroup_id_z 1
		.amdhsa_system_sgpr_workgroup_info 0
		.amdhsa_system_vgpr_workitem_id 1
		.amdhsa_next_free_vgpr 33
		.amdhsa_next_free_sgpr 44
		.amdhsa_reserve_vcc 1
		.amdhsa_reserve_flat_scratch 0
		.amdhsa_float_round_mode_32 0
		.amdhsa_float_round_mode_16_64 0
		.amdhsa_float_denorm_mode_32 3
		.amdhsa_float_denorm_mode_16_64 3
		.amdhsa_dx10_clamp 1
		.amdhsa_ieee_mode 1
		.amdhsa_fp16_overflow 0
		.amdhsa_workgroup_processor_mode 1
		.amdhsa_memory_ordered 1
		.amdhsa_forward_progress 1
		.amdhsa_shared_vgpr_count 0
		.amdhsa_exception_fp_ieee_invalid_op 0
		.amdhsa_exception_fp_denorm_src 0
		.amdhsa_exception_fp_ieee_div_zero 0
		.amdhsa_exception_fp_ieee_overflow 0
		.amdhsa_exception_fp_ieee_underflow 0
		.amdhsa_exception_fp_ieee_inexact 0
		.amdhsa_exception_int_div_zero 0
	.end_amdhsa_kernel
	.section	.text._ZL24rocblas_symm_hemm_kernelILb0ELb0ELi32EdPKdPdEvbiiT2_T3_lllS4_lllT4_llli,"axG",@progbits,_ZL24rocblas_symm_hemm_kernelILb0ELb0ELi32EdPKdPdEvbiiT2_T3_lllS4_lllT4_llli,comdat
.Lfunc_end10:
	.size	_ZL24rocblas_symm_hemm_kernelILb0ELb0ELi32EdPKdPdEvbiiT2_T3_lllS4_lllT4_llli, .Lfunc_end10-_ZL24rocblas_symm_hemm_kernelILb0ELb0ELi32EdPKdPdEvbiiT2_T3_lllS4_lllT4_llli
                                        ; -- End function
	.set _ZL24rocblas_symm_hemm_kernelILb0ELb0ELi32EdPKdPdEvbiiT2_T3_lllS4_lllT4_llli.num_vgpr, 33
	.set _ZL24rocblas_symm_hemm_kernelILb0ELb0ELi32EdPKdPdEvbiiT2_T3_lllS4_lllT4_llli.num_agpr, 0
	.set _ZL24rocblas_symm_hemm_kernelILb0ELb0ELi32EdPKdPdEvbiiT2_T3_lllS4_lllT4_llli.numbered_sgpr, 44
	.set _ZL24rocblas_symm_hemm_kernelILb0ELb0ELi32EdPKdPdEvbiiT2_T3_lllS4_lllT4_llli.num_named_barrier, 0
	.set _ZL24rocblas_symm_hemm_kernelILb0ELb0ELi32EdPKdPdEvbiiT2_T3_lllS4_lllT4_llli.private_seg_size, 0
	.set _ZL24rocblas_symm_hemm_kernelILb0ELb0ELi32EdPKdPdEvbiiT2_T3_lllS4_lllT4_llli.uses_vcc, 1
	.set _ZL24rocblas_symm_hemm_kernelILb0ELb0ELi32EdPKdPdEvbiiT2_T3_lllS4_lllT4_llli.uses_flat_scratch, 0
	.set _ZL24rocblas_symm_hemm_kernelILb0ELb0ELi32EdPKdPdEvbiiT2_T3_lllS4_lllT4_llli.has_dyn_sized_stack, 0
	.set _ZL24rocblas_symm_hemm_kernelILb0ELb0ELi32EdPKdPdEvbiiT2_T3_lllS4_lllT4_llli.has_recursion, 0
	.set _ZL24rocblas_symm_hemm_kernelILb0ELb0ELi32EdPKdPdEvbiiT2_T3_lllS4_lllT4_llli.has_indirect_call, 0
	.section	.AMDGPU.csdata,"",@progbits
; Kernel info:
; codeLenInByte = 1428
; TotalNumSgprs: 46
; NumVgprs: 33
; ScratchSize: 0
; MemoryBound: 0
; FloatMode: 240
; IeeeMode: 1
; LDSByteSize: 16384 bytes/workgroup (compile time only)
; SGPRBlocks: 0
; VGPRBlocks: 4
; NumSGPRsForWavesPerEU: 46
; NumVGPRsForWavesPerEU: 33
; Occupancy: 16
; WaveLimiterHint : 0
; COMPUTE_PGM_RSRC2:SCRATCH_EN: 0
; COMPUTE_PGM_RSRC2:USER_SGPR: 6
; COMPUTE_PGM_RSRC2:TRAP_HANDLER: 0
; COMPUTE_PGM_RSRC2:TGID_X_EN: 1
; COMPUTE_PGM_RSRC2:TGID_Y_EN: 1
; COMPUTE_PGM_RSRC2:TGID_Z_EN: 1
; COMPUTE_PGM_RSRC2:TIDIG_COMP_CNT: 1
	.section	.text._ZL24rocblas_symm_hemm_kernelILb0ELb1ELi32EdPKdPdEvbiiT2_T3_lllS4_lllT4_llli,"axG",@progbits,_ZL24rocblas_symm_hemm_kernelILb0ELb1ELi32EdPKdPdEvbiiT2_T3_lllS4_lllT4_llli,comdat
	.globl	_ZL24rocblas_symm_hemm_kernelILb0ELb1ELi32EdPKdPdEvbiiT2_T3_lllS4_lllT4_llli ; -- Begin function _ZL24rocblas_symm_hemm_kernelILb0ELb1ELi32EdPKdPdEvbiiT2_T3_lllS4_lllT4_llli
	.p2align	8
	.type	_ZL24rocblas_symm_hemm_kernelILb0ELb1ELi32EdPKdPdEvbiiT2_T3_lllS4_lllT4_llli,@function
_ZL24rocblas_symm_hemm_kernelILb0ELb1ELi32EdPKdPdEvbiiT2_T3_lllS4_lllT4_llli: ; @_ZL24rocblas_symm_hemm_kernelILb0ELb1ELi32EdPKdPdEvbiiT2_T3_lllS4_lllT4_llli
; %bb.0:
	s_load_dwordx16 s[12:27], s[4:5], 0x10
	s_waitcnt lgkmcnt(0)
	v_cmp_eq_f64_e64 s0, s[12:13], 0
	s_and_b32 vcc_lo, exec_lo, s0
	s_cbranch_vccnz .LBB11_13
; %bb.1:
	s_load_dwordx4 s[28:31], s[4:5], 0x0
	s_waitcnt lgkmcnt(0)
	s_add_i32 s0, s30, -1
	s_ashr_i32 s1, s0, 31
	s_lshr_b32 s1, s1, 27
	s_add_i32 s0, s0, s1
	s_ashr_i32 s3, s0, 5
	s_cmp_gt_i32 s7, s3
	s_cbranch_scc1 .LBB11_13
; %bb.2:
	s_clause 0x1
	s_load_dwordx2 s[10:11], s[4:5], 0x70
	s_load_dwordx8 s[36:43], s[4:5], 0x50
	s_mul_i32 s1, s21, s8
	s_mul_hi_u32 s2, s20, s8
	s_mul_i32 s0, s20, s8
	s_add_i32 s1, s2, s1
	v_lshl_add_u32 v2, s6, 5, v0
	s_lshl_b64 s[0:1], s[0:1], 3
	s_load_dword s4, s[4:5], 0x84
	s_add_u32 s2, s14, s0
	s_addc_u32 s9, s15, s1
	s_lshl_b64 s[0:1], s[16:17], 3
	v_ashrrev_i32_e32 v3, 31, v2
	s_add_u32 s6, s2, s0
	s_addc_u32 s9, s9, s1
	s_bitcmp1_b32 s28, 0
	v_lshlrev_b32_e32 v5, 3, v1
	s_cselect_b32 s0, -1, 0
	v_lshlrev_b64 v[3:4], 3, v[2:3]
	v_lshlrev_b32_e32 v9, 8, v0
	s_waitcnt lgkmcnt(0)
	s_mul_i32 s1, s11, s8
	s_mul_hi_u32 s2, s10, s8
	s_mul_i32 s10, s10, s8
	s_add_i32 s11, s2, s1
	s_mul_i32 s1, s37, s8
	s_lshl_b64 s[10:11], s[10:11], 3
	s_mul_hi_u32 s2, s36, s8
	s_add_u32 s5, s38, s10
	s_addc_u32 s15, s39, s11
	s_lshl_b64 s[10:11], s[40:41], 3
	s_mul_i32 s14, s36, s8
	s_add_u32 s5, s5, s10
	s_addc_u32 s8, s15, s11
	s_add_i32 s15, s2, s1
	v_or_b32_e32 v10, 0x2000, v5
	s_lshl_b64 s[10:11], s[14:15], 3
	v_add_nc_u32_e32 v13, v9, v5
	s_add_u32 s1, s22, s10
	s_addc_u32 s2, s23, s11
	s_lshl_b64 s[10:11], s[24:25], 3
	v_add_nc_u32_e32 v14, v10, v9
	s_add_u32 s10, s1, s10
	s_addc_u32 s2, s2, s11
	v_add_co_u32 v11, vcc_lo, s10, v3
	v_add_co_ci_u32_e64 v12, null, s2, v4, vcc_lo
	v_add_co_u32 v15, vcc_lo, s5, v3
	v_cmp_gt_i32_e64 s1, s29, v2
	v_add_co_ci_u32_e64 v16, null, s8, v4, vcc_lo
	v_add_nc_u32_e32 v17, 0x800, v10
	v_add_nc_u32_e32 v18, 0x1000, v10
	v_add_nc_u32_e32 v19, 0x1800, v10
	s_cmp_gt_i32 s30, 0
	s_cselect_b32 s5, -1, 0
	s_branch .LBB11_4
.LBB11_3:                               ;   in Loop: Header=BB11_4 Depth=1
	s_add_i32 s7, s7, s4
	s_cmp_gt_i32 s7, s3
	s_cbranch_scc1 .LBB11_13
.LBB11_4:                               ; =>This Loop Header: Depth=1
                                        ;     Child Loop BB11_7 Depth 2
	s_andn2_b32 vcc_lo, exec_lo, s5
	s_cbranch_vccnz .LBB11_3
; %bb.5:                                ;   in Loop: Header=BB11_4 Depth=1
	v_lshl_add_u32 v20, s7, 5, v1
	s_mov_b32 s8, 0
	v_ashrrev_i32_e32 v4, 31, v20
	v_mul_lo_u32 v5, s43, v20
	v_mad_u64_u32 v[2:3], null, s42, v20, 0
	v_cmp_gt_i32_e32 vcc_lo, s30, v20
	v_mul_lo_u32 v4, s42, v4
	v_add3_u32 v3, v3, v4, v5
	v_lshlrev_b64 v[2:3], 3, v[2:3]
	v_add_co_u32 v2, s2, v15, v2
	v_add_co_ci_u32_e64 v3, null, v16, v3, s2
	s_and_b32 s2, s1, vcc_lo
	s_branch .LBB11_7
.LBB11_6:                               ;   in Loop: Header=BB11_7 Depth=2
	s_or_b32 exec_lo, exec_lo, s10
	s_add_i32 s8, s8, 32
	s_waitcnt_vscnt null, 0x0
	s_cmp_ge_i32 s8, s30
	s_barrier
	buffer_gl0_inv
	s_cbranch_scc1 .LBB11_3
.LBB11_7:                               ;   Parent Loop BB11_4 Depth=1
                                        ; =>  This Inner Loop Header: Depth=2
	v_add_nc_u32_e32 v6, s8, v1
	v_mov_b32_e32 v4, 0
	v_mov_b32_e32 v7, 0
	;; [unrolled: 1-line block ×4, first 2 shown]
	v_cmp_gt_i32_e32 vcc_lo, s30, v6
	s_and_b32 s11, s1, vcc_lo
	s_and_saveexec_b32 s10, s11
	s_cbranch_execz .LBB11_9
; %bb.8:                                ;   in Loop: Header=BB11_7 Depth=2
	v_ashrrev_i32_e32 v8, 31, v6
	v_mul_lo_u32 v21, s27, v6
	v_mad_u64_u32 v[6:7], null, s26, v6, 0
	v_mul_lo_u32 v8, s26, v8
	v_add3_u32 v7, v7, v8, v21
	v_lshlrev_b64 v[6:7], 3, v[6:7]
	v_add_co_u32 v6, vcc_lo, v11, v6
	v_add_co_ci_u32_e64 v7, null, v12, v7, vcc_lo
	global_load_dwordx2 v[7:8], v[6:7], off
.LBB11_9:                               ;   in Loop: Header=BB11_7 Depth=2
	s_or_b32 exec_lo, exec_lo, s10
	v_add_nc_u32_e32 v21, s8, v0
	s_mov_b32 s10, exec_lo
	s_waitcnt vmcnt(0)
	ds_write_b64 v13, v[7:8]
	v_cndmask_b32_e64 v6, v20, v21, s0
	v_cndmask_b32_e64 v22, v21, v20, s0
	v_cmp_gt_i32_e32 vcc_lo, v6, v22
	v_cndmask_b32_e32 v6, v21, v20, vcc_lo
	v_cndmask_b32_e32 v21, v20, v21, vcc_lo
	v_max_i32_e32 v22, v6, v21
	v_cmpx_gt_i32_e64 s30, v22
	s_cbranch_execz .LBB11_11
; %bb.10:                               ;   in Loop: Header=BB11_7 Depth=2
	v_ashrrev_i32_e32 v7, 31, v21
	v_mul_lo_u32 v8, s19, v21
	v_mad_u64_u32 v[4:5], null, s18, v21, 0
	v_mul_lo_u32 v7, s18, v7
	v_add3_u32 v5, v5, v7, v8
	v_ashrrev_i32_e32 v7, 31, v6
	v_lshlrev_b64 v[4:5], 3, v[4:5]
	v_lshlrev_b64 v[6:7], 3, v[6:7]
	v_add_co_u32 v4, vcc_lo, s6, v4
	v_add_co_ci_u32_e64 v5, null, s9, v5, vcc_lo
	v_add_co_u32 v4, vcc_lo, v4, v6
	v_add_co_ci_u32_e64 v5, null, v5, v7, vcc_lo
	global_load_dwordx2 v[4:5], v[4:5], off
.LBB11_11:                              ;   in Loop: Header=BB11_7 Depth=2
	s_or_b32 exec_lo, exec_lo, s10
	s_waitcnt vmcnt(0)
	ds_write_b64 v14, v[4:5]
	s_waitcnt lgkmcnt(0)
	s_barrier
	buffer_gl0_inv
	s_and_saveexec_b32 s10, s2
	s_cbranch_execz .LBB11_6
; %bb.12:                               ;   in Loop: Header=BB11_7 Depth=2
	ds_read2_b64 v[4:7], v10 offset1:32
	ds_read_b128 v[21:24], v9
	ds_read_b128 v[25:28], v9 offset:16
	s_waitcnt lgkmcnt(1)
	v_fma_f64 v[4:5], v[21:22], v[4:5], 0
	v_fma_f64 v[21:22], v[23:24], v[6:7], v[4:5]
	ds_read2_b64 v[4:7], v10 offset0:64 offset1:96
	s_waitcnt lgkmcnt(0)
	v_fma_f64 v[4:5], v[25:26], v[4:5], v[21:22]
	v_fma_f64 v[29:30], v[27:28], v[6:7], v[4:5]
	ds_read2_b64 v[4:7], v10 offset0:128 offset1:160
	ds_read_b128 v[21:24], v9 offset:32
	ds_read_b128 v[25:28], v9 offset:48
	s_waitcnt lgkmcnt(1)
	v_fma_f64 v[4:5], v[21:22], v[4:5], v[29:30]
	v_fma_f64 v[21:22], v[23:24], v[6:7], v[4:5]
	ds_read2_b64 v[4:7], v10 offset0:192 offset1:224
	s_waitcnt lgkmcnt(0)
	v_fma_f64 v[4:5], v[25:26], v[4:5], v[21:22]
	v_fma_f64 v[29:30], v[27:28], v[6:7], v[4:5]
	ds_read2_b64 v[4:7], v17 offset1:32
	ds_read_b128 v[21:24], v9 offset:64
	ds_read_b128 v[25:28], v9 offset:80
	s_waitcnt lgkmcnt(1)
	v_fma_f64 v[4:5], v[21:22], v[4:5], v[29:30]
	v_fma_f64 v[21:22], v[23:24], v[6:7], v[4:5]
	ds_read2_b64 v[4:7], v17 offset0:64 offset1:96
	s_waitcnt lgkmcnt(0)
	v_fma_f64 v[4:5], v[25:26], v[4:5], v[21:22]
	v_fma_f64 v[29:30], v[27:28], v[6:7], v[4:5]
	ds_read2_b64 v[4:7], v17 offset0:128 offset1:160
	ds_read_b128 v[21:24], v9 offset:96
	ds_read_b128 v[25:28], v9 offset:112
	s_waitcnt lgkmcnt(1)
	v_fma_f64 v[4:5], v[21:22], v[4:5], v[29:30]
	v_fma_f64 v[21:22], v[23:24], v[6:7], v[4:5]
	ds_read2_b64 v[4:7], v17 offset0:192 offset1:224
	s_waitcnt lgkmcnt(0)
	v_fma_f64 v[4:5], v[25:26], v[4:5], v[21:22]
	v_fma_f64 v[29:30], v[27:28], v[6:7], v[4:5]
	ds_read2_b64 v[4:7], v18 offset1:32
	ds_read_b128 v[21:24], v9 offset:128
	ds_read_b128 v[25:28], v9 offset:144
	s_waitcnt lgkmcnt(1)
	v_fma_f64 v[4:5], v[21:22], v[4:5], v[29:30]
	global_load_dwordx2 v[29:30], v[2:3], off
	v_fma_f64 v[21:22], v[23:24], v[6:7], v[4:5]
	ds_read2_b64 v[4:7], v18 offset0:64 offset1:96
	s_waitcnt lgkmcnt(0)
	v_fma_f64 v[4:5], v[25:26], v[4:5], v[21:22]
	v_fma_f64 v[31:32], v[27:28], v[6:7], v[4:5]
	ds_read2_b64 v[4:7], v18 offset0:128 offset1:160
	ds_read_b128 v[21:24], v9 offset:160
	ds_read_b128 v[25:28], v9 offset:176
	s_waitcnt lgkmcnt(1)
	v_fma_f64 v[4:5], v[21:22], v[4:5], v[31:32]
	v_fma_f64 v[21:22], v[23:24], v[6:7], v[4:5]
	ds_read2_b64 v[4:7], v18 offset0:192 offset1:224
	s_waitcnt lgkmcnt(0)
	v_fma_f64 v[4:5], v[25:26], v[4:5], v[21:22]
	v_fma_f64 v[31:32], v[27:28], v[6:7], v[4:5]
	ds_read2_b64 v[4:7], v19 offset1:32
	ds_read_b128 v[21:24], v9 offset:192
	ds_read_b128 v[25:28], v9 offset:208
	s_waitcnt lgkmcnt(1)
	v_fma_f64 v[4:5], v[21:22], v[4:5], v[31:32]
	v_fma_f64 v[21:22], v[23:24], v[6:7], v[4:5]
	ds_read2_b64 v[4:7], v19 offset0:64 offset1:96
	s_waitcnt lgkmcnt(0)
	v_fma_f64 v[4:5], v[25:26], v[4:5], v[21:22]
	v_fma_f64 v[31:32], v[27:28], v[6:7], v[4:5]
	ds_read2_b64 v[4:7], v19 offset0:128 offset1:160
	ds_read_b128 v[21:24], v9 offset:224
	ds_read_b128 v[25:28], v9 offset:240
	s_waitcnt lgkmcnt(1)
	v_fma_f64 v[4:5], v[21:22], v[4:5], v[31:32]
	v_fma_f64 v[21:22], v[23:24], v[6:7], v[4:5]
	ds_read2_b64 v[4:7], v19 offset0:192 offset1:224
	s_waitcnt lgkmcnt(0)
	v_fma_f64 v[4:5], v[25:26], v[4:5], v[21:22]
	v_fma_f64 v[4:5], v[27:28], v[6:7], v[4:5]
	s_waitcnt vmcnt(0)
	v_fma_f64 v[4:5], s[12:13], v[4:5], v[29:30]
	global_store_dwordx2 v[2:3], v[4:5], off
	s_branch .LBB11_6
.LBB11_13:
	s_endpgm
	.section	.rodata,"a",@progbits
	.p2align	6, 0x0
	.amdhsa_kernel _ZL24rocblas_symm_hemm_kernelILb0ELb1ELi32EdPKdPdEvbiiT2_T3_lllS4_lllT4_llli
		.amdhsa_group_segment_fixed_size 16384
		.amdhsa_private_segment_fixed_size 0
		.amdhsa_kernarg_size 384
		.amdhsa_user_sgpr_count 6
		.amdhsa_user_sgpr_private_segment_buffer 1
		.amdhsa_user_sgpr_dispatch_ptr 0
		.amdhsa_user_sgpr_queue_ptr 0
		.amdhsa_user_sgpr_kernarg_segment_ptr 1
		.amdhsa_user_sgpr_dispatch_id 0
		.amdhsa_user_sgpr_flat_scratch_init 0
		.amdhsa_user_sgpr_private_segment_size 0
		.amdhsa_wavefront_size32 1
		.amdhsa_uses_dynamic_stack 0
		.amdhsa_system_sgpr_private_segment_wavefront_offset 0
		.amdhsa_system_sgpr_workgroup_id_x 1
		.amdhsa_system_sgpr_workgroup_id_y 1
		.amdhsa_system_sgpr_workgroup_id_z 1
		.amdhsa_system_sgpr_workgroup_info 0
		.amdhsa_system_vgpr_workitem_id 1
		.amdhsa_next_free_vgpr 33
		.amdhsa_next_free_sgpr 44
		.amdhsa_reserve_vcc 1
		.amdhsa_reserve_flat_scratch 0
		.amdhsa_float_round_mode_32 0
		.amdhsa_float_round_mode_16_64 0
		.amdhsa_float_denorm_mode_32 3
		.amdhsa_float_denorm_mode_16_64 3
		.amdhsa_dx10_clamp 1
		.amdhsa_ieee_mode 1
		.amdhsa_fp16_overflow 0
		.amdhsa_workgroup_processor_mode 1
		.amdhsa_memory_ordered 1
		.amdhsa_forward_progress 1
		.amdhsa_shared_vgpr_count 0
		.amdhsa_exception_fp_ieee_invalid_op 0
		.amdhsa_exception_fp_denorm_src 0
		.amdhsa_exception_fp_ieee_div_zero 0
		.amdhsa_exception_fp_ieee_overflow 0
		.amdhsa_exception_fp_ieee_underflow 0
		.amdhsa_exception_fp_ieee_inexact 0
		.amdhsa_exception_int_div_zero 0
	.end_amdhsa_kernel
	.section	.text._ZL24rocblas_symm_hemm_kernelILb0ELb1ELi32EdPKdPdEvbiiT2_T3_lllS4_lllT4_llli,"axG",@progbits,_ZL24rocblas_symm_hemm_kernelILb0ELb1ELi32EdPKdPdEvbiiT2_T3_lllS4_lllT4_llli,comdat
.Lfunc_end11:
	.size	_ZL24rocblas_symm_hemm_kernelILb0ELb1ELi32EdPKdPdEvbiiT2_T3_lllS4_lllT4_llli, .Lfunc_end11-_ZL24rocblas_symm_hemm_kernelILb0ELb1ELi32EdPKdPdEvbiiT2_T3_lllS4_lllT4_llli
                                        ; -- End function
	.set _ZL24rocblas_symm_hemm_kernelILb0ELb1ELi32EdPKdPdEvbiiT2_T3_lllS4_lllT4_llli.num_vgpr, 33
	.set _ZL24rocblas_symm_hemm_kernelILb0ELb1ELi32EdPKdPdEvbiiT2_T3_lllS4_lllT4_llli.num_agpr, 0
	.set _ZL24rocblas_symm_hemm_kernelILb0ELb1ELi32EdPKdPdEvbiiT2_T3_lllS4_lllT4_llli.numbered_sgpr, 44
	.set _ZL24rocblas_symm_hemm_kernelILb0ELb1ELi32EdPKdPdEvbiiT2_T3_lllS4_lllT4_llli.num_named_barrier, 0
	.set _ZL24rocblas_symm_hemm_kernelILb0ELb1ELi32EdPKdPdEvbiiT2_T3_lllS4_lllT4_llli.private_seg_size, 0
	.set _ZL24rocblas_symm_hemm_kernelILb0ELb1ELi32EdPKdPdEvbiiT2_T3_lllS4_lllT4_llli.uses_vcc, 1
	.set _ZL24rocblas_symm_hemm_kernelILb0ELb1ELi32EdPKdPdEvbiiT2_T3_lllS4_lllT4_llli.uses_flat_scratch, 0
	.set _ZL24rocblas_symm_hemm_kernelILb0ELb1ELi32EdPKdPdEvbiiT2_T3_lllS4_lllT4_llli.has_dyn_sized_stack, 0
	.set _ZL24rocblas_symm_hemm_kernelILb0ELb1ELi32EdPKdPdEvbiiT2_T3_lllS4_lllT4_llli.has_recursion, 0
	.set _ZL24rocblas_symm_hemm_kernelILb0ELb1ELi32EdPKdPdEvbiiT2_T3_lllS4_lllT4_llli.has_indirect_call, 0
	.section	.AMDGPU.csdata,"",@progbits
; Kernel info:
; codeLenInByte = 1404
; TotalNumSgprs: 46
; NumVgprs: 33
; ScratchSize: 0
; MemoryBound: 0
; FloatMode: 240
; IeeeMode: 1
; LDSByteSize: 16384 bytes/workgroup (compile time only)
; SGPRBlocks: 0
; VGPRBlocks: 4
; NumSGPRsForWavesPerEU: 46
; NumVGPRsForWavesPerEU: 33
; Occupancy: 16
; WaveLimiterHint : 0
; COMPUTE_PGM_RSRC2:SCRATCH_EN: 0
; COMPUTE_PGM_RSRC2:USER_SGPR: 6
; COMPUTE_PGM_RSRC2:TRAP_HANDLER: 0
; COMPUTE_PGM_RSRC2:TGID_X_EN: 1
; COMPUTE_PGM_RSRC2:TGID_Y_EN: 1
; COMPUTE_PGM_RSRC2:TGID_Z_EN: 1
; COMPUTE_PGM_RSRC2:TIDIG_COMP_CNT: 1
	.section	.text._ZL25rocblas_symm_scale_kernelILi128ELi8EPK19rocblas_complex_numIfEPS1_EviiT1_T2_llli,"axG",@progbits,_ZL25rocblas_symm_scale_kernelILi128ELi8EPK19rocblas_complex_numIfEPS1_EviiT1_T2_llli,comdat
	.globl	_ZL25rocblas_symm_scale_kernelILi128ELi8EPK19rocblas_complex_numIfEPS1_EviiT1_T2_llli ; -- Begin function _ZL25rocblas_symm_scale_kernelILi128ELi8EPK19rocblas_complex_numIfEPS1_EviiT1_T2_llli
	.p2align	8
	.type	_ZL25rocblas_symm_scale_kernelILi128ELi8EPK19rocblas_complex_numIfEPS1_EviiT1_T2_llli,@function
_ZL25rocblas_symm_scale_kernelILi128ELi8EPK19rocblas_complex_numIfEPS1_EviiT1_T2_llli: ; @_ZL25rocblas_symm_scale_kernelILi128ELi8EPK19rocblas_complex_numIfEPS1_EviiT1_T2_llli
; %bb.0:
	s_load_dwordx8 s[12:19], s[4:5], 0x8
	s_waitcnt lgkmcnt(0)
	s_load_dwordx2 s[2:3], s[12:13], 0x0
	s_waitcnt lgkmcnt(0)
	v_cmp_eq_f32_e64 s0, s2, 1.0
	v_cmp_eq_f32_e64 s1, s3, 0
	s_and_b32 s0, s0, s1
	s_and_b32 vcc_lo, exec_lo, s0
	s_cbranch_vccnz .LBB12_6
; %bb.1:
	s_load_dwordx2 s[0:1], s[4:5], 0x0
	v_lshl_add_u32 v1, s7, 3, v1
	v_mov_b32_e32 v2, 0
	v_lshl_add_u32 v3, s6, 7, v0
	s_waitcnt lgkmcnt(0)
	s_ashr_i32 s7, s1, 31
	s_mov_b32 s6, s1
	v_cmp_gt_u32_e64 s0, s0, v3
	v_cmp_gt_i64_e32 vcc_lo, s[6:7], v[1:2]
	s_and_b32 s0, s0, vcc_lo
	s_and_saveexec_b32 s1, s0
	s_cbranch_execz .LBB12_6
; %bb.2:
	v_mad_u64_u32 v[5:6], null, s18, v1, 0
	s_clause 0x1
	s_load_dwordx2 s[10:11], s[4:5], 0x28
	s_load_dword s0, s[4:5], 0x3c
	s_or_b32 s1, s2, s3
	v_mov_b32_e32 v4, v2
	s_bitset0_b32 s1, 31
	s_cmp_lg_u32 s1, 0
	v_mov_b32_e32 v0, v6
	s_cselect_b32 s1, -1, 0
	s_lshl_b64 s[4:5], s[16:17], 3
	v_lshlrev_b64 v[3:4], 3, v[3:4]
	v_mad_u64_u32 v[6:7], null, s19, v1, v[0:1]
	s_waitcnt lgkmcnt(0)
	s_mul_i32 s9, s11, s8
	s_mul_hi_u32 s11, s10, s8
	s_mul_i32 s8, s10, s8
	s_add_i32 s9, s11, s9
	v_lshlrev_b64 v[5:6], 3, v[5:6]
	s_lshl_b64 s[10:11], s[8:9], 3
	s_lshl_b32 s8, s0, 3
	s_add_u32 s0, s4, s10
	s_addc_u32 s4, s5, s11
	s_mov_b32 s9, 0
	v_add_co_u32 v0, vcc_lo, s0, v5
	v_add_co_ci_u32_e64 v5, null, s4, v6, vcc_lo
	s_mul_i32 s0, s19, s8
	v_add_co_u32 v0, vcc_lo, v0, v3
	v_add_co_ci_u32_e64 v3, null, v5, v4, vcc_lo
	s_mul_hi_u32 s4, s18, s8
	v_add_co_u32 v0, vcc_lo, s14, v0
	v_add_co_ci_u32_e64 v4, null, s15, v3, vcc_lo
	s_add_i32 s5, s4, s0
	v_add_co_u32 v3, vcc_lo, v0, 4
	v_add_co_ci_u32_e64 v4, null, 0, v4, vcc_lo
	s_mul_i32 s4, s18, s8
	s_lshl_b64 s[4:5], s[4:5], 3
	s_inst_prefetch 0x1
	s_branch .LBB12_4
	.p2align	6
.LBB12_3:                               ;   in Loop: Header=BB12_4 Depth=1
	v_add_co_u32 v1, vcc_lo, v1, s8
	v_add_co_ci_u32_e64 v2, null, 0, v2, vcc_lo
	global_store_dwordx2 v[3:4], v[5:6], off offset:-4
	v_add_co_u32 v3, s0, v3, s4
	v_cmp_le_i64_e32 vcc_lo, s[6:7], v[1:2]
	v_add_co_ci_u32_e64 v4, null, s5, v4, s0
	s_or_b32 s9, vcc_lo, s9
	s_andn2_b32 exec_lo, exec_lo, s9
	s_cbranch_execz .LBB12_6
.LBB12_4:                               ; =>This Inner Loop Header: Depth=1
	v_mov_b32_e32 v6, 0
	v_mov_b32_e32 v5, 0
	s_andn2_b32 vcc_lo, exec_lo, s1
	s_cbranch_vccnz .LBB12_3
; %bb.5:                                ;   in Loop: Header=BB12_4 Depth=1
	global_load_dwordx2 v[7:8], v[3:4], off offset:-4
	s_waitcnt vmcnt(0)
	v_mul_f32_e32 v0, s3, v8
	v_mul_f32_e32 v6, s2, v8
	v_fma_f32 v5, v7, s2, -v0
	v_fmac_f32_e32 v6, s3, v7
	s_branch .LBB12_3
.LBB12_6:
	s_inst_prefetch 0x2
	s_endpgm
	.section	.rodata,"a",@progbits
	.p2align	6, 0x0
	.amdhsa_kernel _ZL25rocblas_symm_scale_kernelILi128ELi8EPK19rocblas_complex_numIfEPS1_EviiT1_T2_llli
		.amdhsa_group_segment_fixed_size 0
		.amdhsa_private_segment_fixed_size 0
		.amdhsa_kernarg_size 312
		.amdhsa_user_sgpr_count 6
		.amdhsa_user_sgpr_private_segment_buffer 1
		.amdhsa_user_sgpr_dispatch_ptr 0
		.amdhsa_user_sgpr_queue_ptr 0
		.amdhsa_user_sgpr_kernarg_segment_ptr 1
		.amdhsa_user_sgpr_dispatch_id 0
		.amdhsa_user_sgpr_flat_scratch_init 0
		.amdhsa_user_sgpr_private_segment_size 0
		.amdhsa_wavefront_size32 1
		.amdhsa_uses_dynamic_stack 0
		.amdhsa_system_sgpr_private_segment_wavefront_offset 0
		.amdhsa_system_sgpr_workgroup_id_x 1
		.amdhsa_system_sgpr_workgroup_id_y 1
		.amdhsa_system_sgpr_workgroup_id_z 1
		.amdhsa_system_sgpr_workgroup_info 0
		.amdhsa_system_vgpr_workitem_id 1
		.amdhsa_next_free_vgpr 9
		.amdhsa_next_free_sgpr 20
		.amdhsa_reserve_vcc 1
		.amdhsa_reserve_flat_scratch 0
		.amdhsa_float_round_mode_32 0
		.amdhsa_float_round_mode_16_64 0
		.amdhsa_float_denorm_mode_32 3
		.amdhsa_float_denorm_mode_16_64 3
		.amdhsa_dx10_clamp 1
		.amdhsa_ieee_mode 1
		.amdhsa_fp16_overflow 0
		.amdhsa_workgroup_processor_mode 1
		.amdhsa_memory_ordered 1
		.amdhsa_forward_progress 1
		.amdhsa_shared_vgpr_count 0
		.amdhsa_exception_fp_ieee_invalid_op 0
		.amdhsa_exception_fp_denorm_src 0
		.amdhsa_exception_fp_ieee_div_zero 0
		.amdhsa_exception_fp_ieee_overflow 0
		.amdhsa_exception_fp_ieee_underflow 0
		.amdhsa_exception_fp_ieee_inexact 0
		.amdhsa_exception_int_div_zero 0
	.end_amdhsa_kernel
	.section	.text._ZL25rocblas_symm_scale_kernelILi128ELi8EPK19rocblas_complex_numIfEPS1_EviiT1_T2_llli,"axG",@progbits,_ZL25rocblas_symm_scale_kernelILi128ELi8EPK19rocblas_complex_numIfEPS1_EviiT1_T2_llli,comdat
.Lfunc_end12:
	.size	_ZL25rocblas_symm_scale_kernelILi128ELi8EPK19rocblas_complex_numIfEPS1_EviiT1_T2_llli, .Lfunc_end12-_ZL25rocblas_symm_scale_kernelILi128ELi8EPK19rocblas_complex_numIfEPS1_EviiT1_T2_llli
                                        ; -- End function
	.set _ZL25rocblas_symm_scale_kernelILi128ELi8EPK19rocblas_complex_numIfEPS1_EviiT1_T2_llli.num_vgpr, 9
	.set _ZL25rocblas_symm_scale_kernelILi128ELi8EPK19rocblas_complex_numIfEPS1_EviiT1_T2_llli.num_agpr, 0
	.set _ZL25rocblas_symm_scale_kernelILi128ELi8EPK19rocblas_complex_numIfEPS1_EviiT1_T2_llli.numbered_sgpr, 20
	.set _ZL25rocblas_symm_scale_kernelILi128ELi8EPK19rocblas_complex_numIfEPS1_EviiT1_T2_llli.num_named_barrier, 0
	.set _ZL25rocblas_symm_scale_kernelILi128ELi8EPK19rocblas_complex_numIfEPS1_EviiT1_T2_llli.private_seg_size, 0
	.set _ZL25rocblas_symm_scale_kernelILi128ELi8EPK19rocblas_complex_numIfEPS1_EviiT1_T2_llli.uses_vcc, 1
	.set _ZL25rocblas_symm_scale_kernelILi128ELi8EPK19rocblas_complex_numIfEPS1_EviiT1_T2_llli.uses_flat_scratch, 0
	.set _ZL25rocblas_symm_scale_kernelILi128ELi8EPK19rocblas_complex_numIfEPS1_EviiT1_T2_llli.has_dyn_sized_stack, 0
	.set _ZL25rocblas_symm_scale_kernelILi128ELi8EPK19rocblas_complex_numIfEPS1_EviiT1_T2_llli.has_recursion, 0
	.set _ZL25rocblas_symm_scale_kernelILi128ELi8EPK19rocblas_complex_numIfEPS1_EviiT1_T2_llli.has_indirect_call, 0
	.section	.AMDGPU.csdata,"",@progbits
; Kernel info:
; codeLenInByte = 500
; TotalNumSgprs: 22
; NumVgprs: 9
; ScratchSize: 0
; MemoryBound: 0
; FloatMode: 240
; IeeeMode: 1
; LDSByteSize: 0 bytes/workgroup (compile time only)
; SGPRBlocks: 0
; VGPRBlocks: 1
; NumSGPRsForWavesPerEU: 22
; NumVGPRsForWavesPerEU: 9
; Occupancy: 16
; WaveLimiterHint : 0
; COMPUTE_PGM_RSRC2:SCRATCH_EN: 0
; COMPUTE_PGM_RSRC2:USER_SGPR: 6
; COMPUTE_PGM_RSRC2:TRAP_HANDLER: 0
; COMPUTE_PGM_RSRC2:TGID_X_EN: 1
; COMPUTE_PGM_RSRC2:TGID_Y_EN: 1
; COMPUTE_PGM_RSRC2:TGID_Z_EN: 1
; COMPUTE_PGM_RSRC2:TIDIG_COMP_CNT: 1
	.section	.text._ZL24rocblas_symm_hemm_kernelILb0ELb0ELi32EPK19rocblas_complex_numIfES3_PS1_EvbiiT2_T3_lllS6_lllT4_llli,"axG",@progbits,_ZL24rocblas_symm_hemm_kernelILb0ELb0ELi32EPK19rocblas_complex_numIfES3_PS1_EvbiiT2_T3_lllS6_lllT4_llli,comdat
	.globl	_ZL24rocblas_symm_hemm_kernelILb0ELb0ELi32EPK19rocblas_complex_numIfES3_PS1_EvbiiT2_T3_lllS6_lllT4_llli ; -- Begin function _ZL24rocblas_symm_hemm_kernelILb0ELb0ELi32EPK19rocblas_complex_numIfES3_PS1_EvbiiT2_T3_lllS6_lllT4_llli
	.p2align	8
	.type	_ZL24rocblas_symm_hemm_kernelILb0ELb0ELi32EPK19rocblas_complex_numIfES3_PS1_EvbiiT2_T3_lllS6_lllT4_llli,@function
_ZL24rocblas_symm_hemm_kernelILb0ELb0ELi32EPK19rocblas_complex_numIfES3_PS1_EvbiiT2_T3_lllS6_lllT4_llli: ; @_ZL24rocblas_symm_hemm_kernelILb0ELb0ELi32EPK19rocblas_complex_numIfES3_PS1_EvbiiT2_T3_lllS6_lllT4_llli
; %bb.0:
	s_load_dwordx16 s[12:27], s[4:5], 0x10
	s_waitcnt lgkmcnt(0)
	s_load_dwordx2 s[10:11], s[12:13], 0x0
	s_waitcnt lgkmcnt(0)
	v_cmp_eq_f32_e64 s0, s10, 0
	v_cmp_eq_f32_e64 s1, s11, 0
	s_and_b32 s0, s0, s1
	s_and_b32 vcc_lo, exec_lo, s0
	s_cbranch_vccnz .LBB13_13
; %bb.1:
	s_load_dwordx4 s[28:31], s[4:5], 0x0
	s_waitcnt lgkmcnt(0)
	s_add_i32 s0, s30, -1
	s_ashr_i32 s1, s0, 31
	s_lshr_b32 s1, s1, 27
	s_add_i32 s0, s0, s1
	s_ashr_i32 s3, s0, 5
	s_cmp_gt_i32 s7, s3
	s_cbranch_scc1 .LBB13_13
; %bb.2:
	s_clause 0x1
	s_load_dwordx8 s[36:43], s[4:5], 0x50
	s_load_dwordx2 s[0:1], s[4:5], 0x70
	s_mul_i32 s2, s21, s8
	s_mul_hi_u32 s9, s20, s8
	s_mul_i32 s12, s20, s8
	s_add_i32 s13, s9, s2
	v_lshl_add_u32 v2, s6, 5, v0
	s_lshl_b64 s[12:13], s[12:13], 3
	s_load_dword s4, s[4:5], 0x84
	s_add_u32 s2, s14, s12
	s_addc_u32 s6, s15, s13
	s_lshl_b64 s[12:13], s[16:17], 3
	v_lshlrev_b32_e32 v11, 8, v0
	s_add_u32 s5, s2, s12
	s_addc_u32 s6, s6, s13
	v_lshlrev_b32_e32 v4, 3, v1
	v_ashrrev_i32_e32 v3, 31, v2
	v_add_nc_u32_e32 v12, v11, v4
	s_waitcnt lgkmcnt(0)
	s_mul_i32 s2, s37, s8
	s_mul_hi_u32 s9, s36, s8
	s_mul_i32 s12, s36, s8
	s_add_i32 s13, s9, s2
	s_mul_i32 s1, s1, s8
	s_lshl_b64 s[12:13], s[12:13], 3
	s_mul_hi_u32 s15, s0, s8
	s_add_u32 s2, s22, s12
	s_addc_u32 s14, s23, s13
	s_lshl_b64 s[12:13], s[24:25], 3
	v_or_b32_e32 v13, 0x2000, v4
	s_add_u32 s9, s2, s12
	s_addc_u32 s12, s14, s13
	s_bitcmp1_b32 s28, 0
	s_mul_i32 s14, s0, s8
	s_cselect_b32 s0, -1, 0
	s_add_i32 s15, s15, s1
	v_lshlrev_b64 v[3:4], 3, v[2:3]
	s_lshl_b64 s[14:15], s[14:15], 3
	v_add_nc_u32_e32 v14, v13, v11
	s_add_u32 s1, s38, s14
	s_addc_u32 s2, s39, s15
	s_lshl_b64 s[14:15], s[40:41], 3
	v_add_nc_u32_e32 v17, 0x800, v13
	s_add_u32 s8, s1, s14
	s_addc_u32 s2, s2, s15
	v_add_co_u32 v15, vcc_lo, s8, v3
	v_cmp_gt_i32_e64 s1, s29, v2
	v_add_co_ci_u32_e64 v16, null, s2, v4, vcc_lo
	v_add_nc_u32_e32 v18, 0x1000, v13
	v_add_nc_u32_e32 v19, 0x1800, v13
	s_cmp_gt_i32 s29, 0
	s_cselect_b32 s8, -1, 0
	s_branch .LBB13_4
.LBB13_3:                               ;   in Loop: Header=BB13_4 Depth=1
	s_add_i32 s7, s7, s4
	s_cmp_gt_i32 s7, s3
	s_cbranch_scc1 .LBB13_13
.LBB13_4:                               ; =>This Loop Header: Depth=1
                                        ;     Child Loop BB13_7 Depth 2
	s_andn2_b32 vcc_lo, exec_lo, s8
	s_cbranch_vccnz .LBB13_3
; %bb.5:                                ;   in Loop: Header=BB13_4 Depth=1
	v_lshl_add_u32 v7, s7, 5, v1
	s_mov_b32 s14, 0
	v_ashrrev_i32_e32 v8, 31, v7
	v_mul_lo_u32 v9, s27, v7
	v_mad_u64_u32 v[3:4], null, s26, v7, 0
	v_mul_lo_u32 v20, s43, v7
	v_mul_lo_u32 v10, s26, v8
	v_mad_u64_u32 v[5:6], null, s42, v7, 0
	v_mul_lo_u32 v8, s42, v8
	v_cmp_gt_i32_e32 vcc_lo, s30, v7
	v_add3_u32 v4, v4, v10, v9
	s_and_b32 s13, s1, vcc_lo
	v_add3_u32 v6, v6, v8, v20
	v_lshlrev_b64 v[3:4], 3, v[3:4]
	v_lshlrev_b64 v[5:6], 3, v[5:6]
	v_add_co_u32 v20, s2, s9, v3
	v_add_co_ci_u32_e64 v21, null, s12, v4, s2
	v_add_co_u32 v3, s2, v15, v5
	v_add_co_ci_u32_e64 v4, null, v16, v6, s2
	s_branch .LBB13_7
.LBB13_6:                               ;   in Loop: Header=BB13_7 Depth=2
	s_or_b32 exec_lo, exec_lo, s2
	s_add_i32 s14, s14, 32
	s_waitcnt_vscnt null, 0x0
	s_cmp_ge_i32 s14, s29
	s_barrier
	buffer_gl0_inv
	s_cbranch_scc1 .LBB13_3
.LBB13_7:                               ;   Parent Loop BB13_4 Depth=1
                                        ; =>  This Inner Loop Header: Depth=2
	v_add_nc_u32_e32 v5, s14, v1
	v_cndmask_b32_e64 v6, v5, v2, s0
	v_cndmask_b32_e64 v7, v2, v5, s0
	v_cmp_gt_i32_e64 s2, v6, v7
	v_mov_b32_e32 v7, 0
	v_cndmask_b32_e64 v6, v2, v5, s2
	v_cndmask_b32_e64 v9, v5, v2, s2
	v_mov_b32_e32 v5, 0
	v_max_i32_e32 v8, v6, v9
	v_cmp_gt_i32_e64 s2, s29, v8
	v_mov_b32_e32 v8, 0
	s_and_saveexec_b32 s15, s2
	s_cbranch_execz .LBB13_9
; %bb.8:                                ;   in Loop: Header=BB13_7 Depth=2
	v_ashrrev_i32_e32 v7, 31, v9
	v_mul_lo_u32 v10, s19, v9
	v_mad_u64_u32 v[8:9], null, s18, v9, 0
	v_mul_lo_u32 v7, s18, v7
	v_add3_u32 v9, v9, v7, v10
	v_ashrrev_i32_e32 v7, 31, v6
	v_lshlrev_b64 v[8:9], 3, v[8:9]
	v_lshlrev_b64 v[6:7], 3, v[6:7]
	v_add_co_u32 v8, s2, s5, v8
	v_add_co_ci_u32_e64 v9, null, s6, v9, s2
	v_add_co_u32 v6, s2, v8, v6
	v_add_co_ci_u32_e64 v7, null, v9, v7, s2
	global_load_dwordx2 v[7:8], v[6:7], off
.LBB13_9:                               ;   in Loop: Header=BB13_7 Depth=2
	s_or_b32 exec_lo, exec_lo, s15
	v_add_nc_u32_e32 v9, s14, v0
	v_mov_b32_e32 v6, 0
	s_waitcnt vmcnt(0)
	ds_write_b64 v12, v[7:8]
	v_cmp_gt_i32_e64 s2, s29, v9
	s_and_b32 s2, s2, vcc_lo
	s_and_saveexec_b32 s15, s2
	s_cbranch_execz .LBB13_11
; %bb.10:                               ;   in Loop: Header=BB13_7 Depth=2
	v_ashrrev_i32_e32 v10, 31, v9
	v_lshlrev_b64 v[5:6], 3, v[9:10]
	v_add_co_u32 v5, s2, v20, v5
	v_add_co_ci_u32_e64 v6, null, v21, v6, s2
	global_load_dwordx2 v[5:6], v[5:6], off
.LBB13_11:                              ;   in Loop: Header=BB13_7 Depth=2
	s_or_b32 exec_lo, exec_lo, s15
	s_waitcnt vmcnt(0)
	ds_write_b64 v14, v[5:6]
	s_waitcnt lgkmcnt(0)
	s_barrier
	buffer_gl0_inv
	s_and_saveexec_b32 s2, s13
	s_cbranch_execz .LBB13_6
; %bb.12:                               ;   in Loop: Header=BB13_7 Depth=2
	ds_read_b128 v[5:8], v11
	ds_read_b128 v[22:25], v11 offset:16
	ds_read_b128 v[26:29], v11 offset:32
	ds_read_b128 v[30:33], v11 offset:48
	ds_read2_b64 v[34:37], v13 offset1:32
	s_waitcnt lgkmcnt(0)
	v_mul_f32_e32 v9, v35, v6
	v_mul_f32_e32 v6, v34, v6
	v_fma_f32 v9, v34, v5, -v9
	v_fmac_f32_e32 v6, v35, v5
	v_add_f32_e32 v5, 0, v9
	v_mul_f32_e32 v9, v37, v8
	v_mul_f32_e32 v8, v36, v8
	v_add_f32_e32 v6, 0, v6
	v_fma_f32 v9, v36, v7, -v9
	v_fmac_f32_e32 v8, v37, v7
	v_add_f32_e32 v9, v5, v9
	v_add_f32_e32 v10, v6, v8
	ds_read2_b64 v[5:8], v13 offset0:64 offset1:96
	s_waitcnt lgkmcnt(0)
	v_mul_f32_e32 v34, v6, v23
	v_fma_f32 v34, v5, v22, -v34
	v_mul_f32_e32 v5, v5, v23
	v_fmac_f32_e32 v5, v6, v22
	v_add_f32_e32 v6, v9, v34
	v_mul_f32_e32 v9, v8, v25
	v_add_f32_e32 v5, v10, v5
	v_fma_f32 v9, v7, v24, -v9
	v_mul_f32_e32 v7, v7, v25
	v_add_f32_e32 v9, v6, v9
	v_fmac_f32_e32 v7, v8, v24
	v_add_f32_e32 v10, v5, v7
	ds_read2_b64 v[5:8], v13 offset0:128 offset1:160
	s_waitcnt lgkmcnt(0)
	v_mul_f32_e32 v22, v6, v27
	v_fma_f32 v22, v5, v26, -v22
	v_mul_f32_e32 v5, v5, v27
	v_fmac_f32_e32 v5, v6, v26
	v_add_f32_e32 v6, v9, v22
	v_mul_f32_e32 v9, v8, v29
	v_add_f32_e32 v5, v10, v5
	v_fma_f32 v9, v7, v28, -v9
	v_mul_f32_e32 v7, v7, v29
	v_add_f32_e32 v9, v6, v9
	v_fmac_f32_e32 v7, v8, v28
	;; [unrolled: 14-line block ×3, first 2 shown]
	v_add_f32_e32 v10, v5, v7
	ds_read_b128 v[5:8], v11 offset:64
	ds_read2_b64 v[22:25], v17 offset1:32
	s_waitcnt lgkmcnt(0)
	v_mul_f32_e32 v26, v23, v6
	v_mul_f32_e32 v6, v22, v6
	v_fma_f32 v26, v22, v5, -v26
	v_fmac_f32_e32 v6, v23, v5
	v_add_f32_e32 v5, v9, v26
	v_mul_f32_e32 v9, v25, v8
	v_mul_f32_e32 v8, v24, v8
	v_add_f32_e32 v6, v10, v6
	v_fma_f32 v9, v24, v7, -v9
	v_fmac_f32_e32 v8, v25, v7
	v_add_f32_e32 v9, v5, v9
	v_add_f32_e32 v10, v6, v8
	ds_read_b128 v[5:8], v11 offset:80
	ds_read2_b64 v[22:25], v17 offset0:64 offset1:96
	s_waitcnt lgkmcnt(0)
	v_mul_f32_e32 v26, v23, v6
	v_mul_f32_e32 v6, v22, v6
	v_fma_f32 v26, v22, v5, -v26
	v_fmac_f32_e32 v6, v23, v5
	v_add_f32_e32 v5, v9, v26
	v_mul_f32_e32 v9, v25, v8
	v_mul_f32_e32 v8, v24, v8
	v_add_f32_e32 v6, v10, v6
	v_fma_f32 v9, v24, v7, -v9
	v_fmac_f32_e32 v8, v25, v7
	v_add_f32_e32 v9, v5, v9
	v_add_f32_e32 v10, v6, v8
	ds_read_b128 v[5:8], v11 offset:96
	ds_read2_b64 v[22:25], v17 offset0:128 offset1:160
	s_waitcnt lgkmcnt(0)
	v_mul_f32_e32 v26, v23, v6
	v_mul_f32_e32 v6, v22, v6
	v_fma_f32 v26, v22, v5, -v26
	v_fmac_f32_e32 v6, v23, v5
	v_add_f32_e32 v5, v9, v26
	v_mul_f32_e32 v9, v25, v8
	v_mul_f32_e32 v8, v24, v8
	v_add_f32_e32 v6, v10, v6
	v_fma_f32 v9, v24, v7, -v9
	v_fmac_f32_e32 v8, v25, v7
	v_add_f32_e32 v9, v5, v9
	v_add_f32_e32 v10, v6, v8
	ds_read_b128 v[5:8], v11 offset:112
	ds_read2_b64 v[22:25], v17 offset0:192 offset1:224
	s_waitcnt lgkmcnt(0)
	v_mul_f32_e32 v26, v23, v6
	v_mul_f32_e32 v6, v22, v6
	v_fma_f32 v26, v22, v5, -v26
	v_fmac_f32_e32 v6, v23, v5
	v_add_f32_e32 v5, v9, v26
	v_mul_f32_e32 v9, v25, v8
	v_mul_f32_e32 v8, v24, v8
	v_add_f32_e32 v6, v10, v6
	v_fma_f32 v9, v24, v7, -v9
	v_fmac_f32_e32 v8, v25, v7
	v_add_f32_e32 v9, v5, v9
	v_add_f32_e32 v10, v6, v8
	ds_read_b128 v[5:8], v11 offset:128
	ds_read2_b64 v[22:25], v18 offset1:32
	s_waitcnt lgkmcnt(0)
	v_mul_f32_e32 v26, v23, v6
	v_mul_f32_e32 v6, v22, v6
	v_fma_f32 v26, v22, v5, -v26
	v_fmac_f32_e32 v6, v23, v5
	v_add_f32_e32 v5, v9, v26
	v_mul_f32_e32 v9, v25, v8
	v_mul_f32_e32 v8, v24, v8
	v_add_f32_e32 v6, v10, v6
	v_fma_f32 v9, v24, v7, -v9
	v_fmac_f32_e32 v8, v25, v7
	v_add_f32_e32 v9, v5, v9
	v_add_f32_e32 v10, v6, v8
	ds_read_b128 v[5:8], v11 offset:144
	ds_read2_b64 v[22:25], v18 offset0:64 offset1:96
	s_waitcnt lgkmcnt(0)
	v_mul_f32_e32 v26, v23, v6
	v_mul_f32_e32 v6, v22, v6
	v_fma_f32 v26, v22, v5, -v26
	v_fmac_f32_e32 v6, v23, v5
	v_add_f32_e32 v5, v9, v26
	v_mul_f32_e32 v9, v25, v8
	v_mul_f32_e32 v8, v24, v8
	v_add_f32_e32 v6, v10, v6
	v_fma_f32 v9, v24, v7, -v9
	v_fmac_f32_e32 v8, v25, v7
	v_add_f32_e32 v9, v5, v9
	v_add_f32_e32 v10, v6, v8
	ds_read_b128 v[5:8], v11 offset:160
	ds_read2_b64 v[22:25], v18 offset0:128 offset1:160
	s_waitcnt lgkmcnt(0)
	v_mul_f32_e32 v26, v23, v6
	v_mul_f32_e32 v6, v22, v6
	v_fma_f32 v26, v22, v5, -v26
	v_fmac_f32_e32 v6, v23, v5
	v_add_f32_e32 v5, v9, v26
	v_mul_f32_e32 v9, v25, v8
	v_mul_f32_e32 v8, v24, v8
	v_add_f32_e32 v6, v10, v6
	v_fma_f32 v9, v24, v7, -v9
	v_fmac_f32_e32 v8, v25, v7
	v_add_f32_e32 v9, v5, v9
	v_add_f32_e32 v10, v6, v8
	ds_read_b128 v[5:8], v11 offset:176
	ds_read2_b64 v[22:25], v18 offset0:192 offset1:224
	s_waitcnt lgkmcnt(0)
	v_mul_f32_e32 v26, v23, v6
	v_mul_f32_e32 v6, v22, v6
	v_fma_f32 v26, v22, v5, -v26
	v_fmac_f32_e32 v6, v23, v5
	v_add_f32_e32 v5, v9, v26
	v_mul_f32_e32 v9, v25, v8
	v_mul_f32_e32 v8, v24, v8
	v_add_f32_e32 v6, v10, v6
	v_fma_f32 v9, v24, v7, -v9
	v_fmac_f32_e32 v8, v25, v7
	v_add_f32_e32 v9, v5, v9
	v_add_f32_e32 v10, v6, v8
	ds_read_b128 v[5:8], v11 offset:192
	ds_read2_b64 v[22:25], v19 offset1:32
	s_waitcnt lgkmcnt(0)
	v_mul_f32_e32 v26, v23, v6
	v_mul_f32_e32 v6, v22, v6
	v_fma_f32 v26, v22, v5, -v26
	v_fmac_f32_e32 v6, v23, v5
	v_add_f32_e32 v5, v9, v26
	v_mul_f32_e32 v9, v25, v8
	v_mul_f32_e32 v8, v24, v8
	v_add_f32_e32 v6, v10, v6
	v_fma_f32 v9, v24, v7, -v9
	v_fmac_f32_e32 v8, v25, v7
	v_add_f32_e32 v9, v5, v9
	v_add_f32_e32 v10, v6, v8
	ds_read_b128 v[5:8], v11 offset:208
	ds_read2_b64 v[22:25], v19 offset0:64 offset1:96
	s_waitcnt lgkmcnt(0)
	v_mul_f32_e32 v26, v23, v6
	v_mul_f32_e32 v6, v22, v6
	v_fma_f32 v26, v22, v5, -v26
	v_fmac_f32_e32 v6, v23, v5
	v_add_f32_e32 v5, v9, v26
	v_mul_f32_e32 v9, v25, v8
	v_mul_f32_e32 v8, v24, v8
	v_add_f32_e32 v6, v10, v6
	v_fma_f32 v9, v24, v7, -v9
	v_fmac_f32_e32 v8, v25, v7
	v_add_f32_e32 v9, v5, v9
	v_add_f32_e32 v10, v6, v8
	ds_read_b128 v[5:8], v11 offset:224
	ds_read2_b64 v[22:25], v19 offset0:128 offset1:160
	s_waitcnt lgkmcnt(0)
	v_mul_f32_e32 v26, v23, v6
	v_mul_f32_e32 v6, v22, v6
	v_fma_f32 v26, v22, v5, -v26
	v_fmac_f32_e32 v6, v23, v5
	v_add_f32_e32 v5, v9, v26
	v_mul_f32_e32 v9, v25, v8
	v_mul_f32_e32 v8, v24, v8
	v_add_f32_e32 v6, v10, v6
	v_fma_f32 v9, v24, v7, -v9
	v_fmac_f32_e32 v8, v25, v7
	v_add_f32_e32 v9, v5, v9
	v_add_f32_e32 v10, v6, v8
	ds_read_b128 v[5:8], v11 offset:240
	ds_read2_b64 v[22:25], v19 offset0:192 offset1:224
	s_waitcnt lgkmcnt(0)
	v_mul_f32_e32 v26, v23, v6
	v_mul_f32_e32 v6, v22, v6
	v_fma_f32 v26, v22, v5, -v26
	v_fmac_f32_e32 v6, v23, v5
	v_add_f32_e32 v5, v9, v26
	v_mul_f32_e32 v9, v25, v8
	v_mul_f32_e32 v8, v24, v8
	v_add_f32_e32 v6, v10, v6
	v_fma_f32 v9, v24, v7, -v9
	v_fmac_f32_e32 v8, v25, v7
	v_add_f32_e32 v7, v5, v9
	v_add_f32_e32 v8, v6, v8
	v_mul_f32_e32 v6, s11, v7
	v_mul_f32_e32 v5, s11, v8
	v_fmac_f32_e32 v6, s10, v8
	v_fma_f32 v5, s10, v7, -v5
	global_load_dwordx2 v[7:8], v[3:4], off
	s_waitcnt vmcnt(0)
	v_add_f32_e32 v5, v7, v5
	v_add_f32_e32 v6, v8, v6
	global_store_dwordx2 v[3:4], v[5:6], off
	s_branch .LBB13_6
.LBB13_13:
	s_endpgm
	.section	.rodata,"a",@progbits
	.p2align	6, 0x0
	.amdhsa_kernel _ZL24rocblas_symm_hemm_kernelILb0ELb0ELi32EPK19rocblas_complex_numIfES3_PS1_EvbiiT2_T3_lllS6_lllT4_llli
		.amdhsa_group_segment_fixed_size 16384
		.amdhsa_private_segment_fixed_size 0
		.amdhsa_kernarg_size 384
		.amdhsa_user_sgpr_count 6
		.amdhsa_user_sgpr_private_segment_buffer 1
		.amdhsa_user_sgpr_dispatch_ptr 0
		.amdhsa_user_sgpr_queue_ptr 0
		.amdhsa_user_sgpr_kernarg_segment_ptr 1
		.amdhsa_user_sgpr_dispatch_id 0
		.amdhsa_user_sgpr_flat_scratch_init 0
		.amdhsa_user_sgpr_private_segment_size 0
		.amdhsa_wavefront_size32 1
		.amdhsa_uses_dynamic_stack 0
		.amdhsa_system_sgpr_private_segment_wavefront_offset 0
		.amdhsa_system_sgpr_workgroup_id_x 1
		.amdhsa_system_sgpr_workgroup_id_y 1
		.amdhsa_system_sgpr_workgroup_id_z 1
		.amdhsa_system_sgpr_workgroup_info 0
		.amdhsa_system_vgpr_workitem_id 1
		.amdhsa_next_free_vgpr 38
		.amdhsa_next_free_sgpr 44
		.amdhsa_reserve_vcc 1
		.amdhsa_reserve_flat_scratch 0
		.amdhsa_float_round_mode_32 0
		.amdhsa_float_round_mode_16_64 0
		.amdhsa_float_denorm_mode_32 3
		.amdhsa_float_denorm_mode_16_64 3
		.amdhsa_dx10_clamp 1
		.amdhsa_ieee_mode 1
		.amdhsa_fp16_overflow 0
		.amdhsa_workgroup_processor_mode 1
		.amdhsa_memory_ordered 1
		.amdhsa_forward_progress 1
		.amdhsa_shared_vgpr_count 0
		.amdhsa_exception_fp_ieee_invalid_op 0
		.amdhsa_exception_fp_denorm_src 0
		.amdhsa_exception_fp_ieee_div_zero 0
		.amdhsa_exception_fp_ieee_overflow 0
		.amdhsa_exception_fp_ieee_underflow 0
		.amdhsa_exception_fp_ieee_inexact 0
		.amdhsa_exception_int_div_zero 0
	.end_amdhsa_kernel
	.section	.text._ZL24rocblas_symm_hemm_kernelILb0ELb0ELi32EPK19rocblas_complex_numIfES3_PS1_EvbiiT2_T3_lllS6_lllT4_llli,"axG",@progbits,_ZL24rocblas_symm_hemm_kernelILb0ELb0ELi32EPK19rocblas_complex_numIfES3_PS1_EvbiiT2_T3_lllS6_lllT4_llli,comdat
.Lfunc_end13:
	.size	_ZL24rocblas_symm_hemm_kernelILb0ELb0ELi32EPK19rocblas_complex_numIfES3_PS1_EvbiiT2_T3_lllS6_lllT4_llli, .Lfunc_end13-_ZL24rocblas_symm_hemm_kernelILb0ELb0ELi32EPK19rocblas_complex_numIfES3_PS1_EvbiiT2_T3_lllS6_lllT4_llli
                                        ; -- End function
	.set _ZL24rocblas_symm_hemm_kernelILb0ELb0ELi32EPK19rocblas_complex_numIfES3_PS1_EvbiiT2_T3_lllS6_lllT4_llli.num_vgpr, 38
	.set _ZL24rocblas_symm_hemm_kernelILb0ELb0ELi32EPK19rocblas_complex_numIfES3_PS1_EvbiiT2_T3_lllS6_lllT4_llli.num_agpr, 0
	.set _ZL24rocblas_symm_hemm_kernelILb0ELb0ELi32EPK19rocblas_complex_numIfES3_PS1_EvbiiT2_T3_lllS6_lllT4_llli.numbered_sgpr, 44
	.set _ZL24rocblas_symm_hemm_kernelILb0ELb0ELi32EPK19rocblas_complex_numIfES3_PS1_EvbiiT2_T3_lllS6_lllT4_llli.num_named_barrier, 0
	.set _ZL24rocblas_symm_hemm_kernelILb0ELb0ELi32EPK19rocblas_complex_numIfES3_PS1_EvbiiT2_T3_lllS6_lllT4_llli.private_seg_size, 0
	.set _ZL24rocblas_symm_hemm_kernelILb0ELb0ELi32EPK19rocblas_complex_numIfES3_PS1_EvbiiT2_T3_lllS6_lllT4_llli.uses_vcc, 1
	.set _ZL24rocblas_symm_hemm_kernelILb0ELb0ELi32EPK19rocblas_complex_numIfES3_PS1_EvbiiT2_T3_lllS6_lllT4_llli.uses_flat_scratch, 0
	.set _ZL24rocblas_symm_hemm_kernelILb0ELb0ELi32EPK19rocblas_complex_numIfES3_PS1_EvbiiT2_T3_lllS6_lllT4_llli.has_dyn_sized_stack, 0
	.set _ZL24rocblas_symm_hemm_kernelILb0ELb0ELi32EPK19rocblas_complex_numIfES3_PS1_EvbiiT2_T3_lllS6_lllT4_llli.has_recursion, 0
	.set _ZL24rocblas_symm_hemm_kernelILb0ELb0ELi32EPK19rocblas_complex_numIfES3_PS1_EvbiiT2_T3_lllS6_lllT4_llli.has_indirect_call, 0
	.section	.AMDGPU.csdata,"",@progbits
; Kernel info:
; codeLenInByte = 2112
; TotalNumSgprs: 46
; NumVgprs: 38
; ScratchSize: 0
; MemoryBound: 0
; FloatMode: 240
; IeeeMode: 1
; LDSByteSize: 16384 bytes/workgroup (compile time only)
; SGPRBlocks: 0
; VGPRBlocks: 4
; NumSGPRsForWavesPerEU: 46
; NumVGPRsForWavesPerEU: 38
; Occupancy: 16
; WaveLimiterHint : 0
; COMPUTE_PGM_RSRC2:SCRATCH_EN: 0
; COMPUTE_PGM_RSRC2:USER_SGPR: 6
; COMPUTE_PGM_RSRC2:TRAP_HANDLER: 0
; COMPUTE_PGM_RSRC2:TGID_X_EN: 1
; COMPUTE_PGM_RSRC2:TGID_Y_EN: 1
; COMPUTE_PGM_RSRC2:TGID_Z_EN: 1
; COMPUTE_PGM_RSRC2:TIDIG_COMP_CNT: 1
	.section	.text._ZL24rocblas_symm_hemm_kernelILb0ELb1ELi32EPK19rocblas_complex_numIfES3_PS1_EvbiiT2_T3_lllS6_lllT4_llli,"axG",@progbits,_ZL24rocblas_symm_hemm_kernelILb0ELb1ELi32EPK19rocblas_complex_numIfES3_PS1_EvbiiT2_T3_lllS6_lllT4_llli,comdat
	.globl	_ZL24rocblas_symm_hemm_kernelILb0ELb1ELi32EPK19rocblas_complex_numIfES3_PS1_EvbiiT2_T3_lllS6_lllT4_llli ; -- Begin function _ZL24rocblas_symm_hemm_kernelILb0ELb1ELi32EPK19rocblas_complex_numIfES3_PS1_EvbiiT2_T3_lllS6_lllT4_llli
	.p2align	8
	.type	_ZL24rocblas_symm_hemm_kernelILb0ELb1ELi32EPK19rocblas_complex_numIfES3_PS1_EvbiiT2_T3_lllS6_lllT4_llli,@function
_ZL24rocblas_symm_hemm_kernelILb0ELb1ELi32EPK19rocblas_complex_numIfES3_PS1_EvbiiT2_T3_lllS6_lllT4_llli: ; @_ZL24rocblas_symm_hemm_kernelILb0ELb1ELi32EPK19rocblas_complex_numIfES3_PS1_EvbiiT2_T3_lllS6_lllT4_llli
; %bb.0:
	s_load_dwordx16 s[12:27], s[4:5], 0x10
	s_waitcnt lgkmcnt(0)
	s_load_dwordx2 s[10:11], s[12:13], 0x0
	s_waitcnt lgkmcnt(0)
	v_cmp_eq_f32_e64 s0, s10, 0
	v_cmp_eq_f32_e64 s1, s11, 0
	s_and_b32 s0, s0, s1
	s_and_b32 vcc_lo, exec_lo, s0
	s_cbranch_vccnz .LBB14_13
; %bb.1:
	s_load_dwordx4 s[28:31], s[4:5], 0x0
	s_waitcnt lgkmcnt(0)
	s_add_i32 s0, s30, -1
	s_ashr_i32 s1, s0, 31
	s_lshr_b32 s1, s1, 27
	s_add_i32 s0, s0, s1
	s_ashr_i32 s3, s0, 5
	s_cmp_gt_i32 s7, s3
	s_cbranch_scc1 .LBB14_13
; %bb.2:
	s_clause 0x1
	s_load_dwordx2 s[12:13], s[4:5], 0x70
	s_load_dwordx8 s[36:43], s[4:5], 0x50
	s_mul_i32 s1, s21, s8
	s_mul_hi_u32 s2, s20, s8
	s_mul_i32 s0, s20, s8
	s_add_i32 s1, s2, s1
	v_lshl_add_u32 v2, s6, 5, v0
	s_lshl_b64 s[0:1], s[0:1], 3
	s_load_dword s4, s[4:5], 0x84
	s_add_u32 s2, s14, s0
	s_addc_u32 s9, s15, s1
	s_lshl_b64 s[0:1], s[16:17], 3
	v_ashrrev_i32_e32 v3, 31, v2
	s_add_u32 s6, s2, s0
	s_addc_u32 s9, s9, s1
	s_bitcmp1_b32 s28, 0
	v_lshlrev_b32_e32 v5, 3, v1
	s_cselect_b32 s0, -1, 0
	v_lshlrev_b64 v[3:4], 3, v[2:3]
	v_lshlrev_b32_e32 v10, 8, v0
	s_waitcnt lgkmcnt(0)
	s_mul_i32 s1, s13, s8
	s_mul_hi_u32 s2, s12, s8
	s_mul_i32 s12, s12, s8
	s_add_i32 s13, s2, s1
	s_mul_i32 s1, s37, s8
	s_lshl_b64 s[12:13], s[12:13], 3
	s_mul_hi_u32 s2, s36, s8
	s_add_u32 s5, s38, s12
	s_addc_u32 s15, s39, s13
	s_lshl_b64 s[12:13], s[40:41], 3
	s_mul_i32 s14, s36, s8
	s_add_u32 s5, s5, s12
	s_addc_u32 s8, s15, s13
	s_add_i32 s15, s2, s1
	v_or_b32_e32 v11, 0x2000, v5
	s_lshl_b64 s[12:13], s[14:15], 3
	v_add_nc_u32_e32 v14, v10, v5
	s_add_u32 s1, s22, s12
	s_addc_u32 s2, s23, s13
	s_lshl_b64 s[12:13], s[24:25], 3
	v_add_nc_u32_e32 v15, v11, v10
	s_add_u32 s12, s1, s12
	s_addc_u32 s2, s2, s13
	v_add_co_u32 v12, vcc_lo, s12, v3
	v_add_co_ci_u32_e64 v13, null, s2, v4, vcc_lo
	v_add_co_u32 v16, vcc_lo, s5, v3
	v_cmp_gt_i32_e64 s1, s29, v2
	v_add_co_ci_u32_e64 v17, null, s8, v4, vcc_lo
	v_add_nc_u32_e32 v18, 0x800, v11
	v_add_nc_u32_e32 v19, 0x1000, v11
	;; [unrolled: 1-line block ×3, first 2 shown]
	s_cmp_gt_i32 s30, 0
	s_cselect_b32 s5, -1, 0
	s_branch .LBB14_4
.LBB14_3:                               ;   in Loop: Header=BB14_4 Depth=1
	s_add_i32 s7, s7, s4
	s_cmp_gt_i32 s7, s3
	s_cbranch_scc1 .LBB14_13
.LBB14_4:                               ; =>This Loop Header: Depth=1
                                        ;     Child Loop BB14_7 Depth 2
	s_andn2_b32 vcc_lo, exec_lo, s5
	s_cbranch_vccnz .LBB14_3
; %bb.5:                                ;   in Loop: Header=BB14_4 Depth=1
	v_lshl_add_u32 v21, s7, 5, v1
	s_mov_b32 s8, 0
	v_ashrrev_i32_e32 v4, 31, v21
	v_mul_lo_u32 v5, s43, v21
	v_mad_u64_u32 v[2:3], null, s42, v21, 0
	v_cmp_gt_i32_e32 vcc_lo, s30, v21
	v_mul_lo_u32 v4, s42, v4
	v_add3_u32 v3, v3, v4, v5
	v_lshlrev_b64 v[2:3], 3, v[2:3]
	v_add_co_u32 v2, s2, v16, v2
	v_add_co_ci_u32_e64 v3, null, v17, v3, s2
	s_and_b32 s2, s1, vcc_lo
	s_branch .LBB14_7
.LBB14_6:                               ;   in Loop: Header=BB14_7 Depth=2
	s_or_b32 exec_lo, exec_lo, s12
	s_add_i32 s8, s8, 32
	s_waitcnt_vscnt null, 0x0
	s_cmp_ge_i32 s8, s30
	s_barrier
	buffer_gl0_inv
	s_cbranch_scc1 .LBB14_3
.LBB14_7:                               ;   Parent Loop BB14_4 Depth=1
                                        ; =>  This Inner Loop Header: Depth=2
	v_add_nc_u32_e32 v5, s8, v1
	v_mov_b32_e32 v4, 0
	v_mov_b32_e32 v6, 0
	;; [unrolled: 1-line block ×3, first 2 shown]
	v_cmp_gt_i32_e32 vcc_lo, s30, v5
	s_and_b32 s13, s1, vcc_lo
	s_and_saveexec_b32 s12, s13
	s_cbranch_execz .LBB14_9
; %bb.8:                                ;   in Loop: Header=BB14_7 Depth=2
	v_ashrrev_i32_e32 v7, 31, v5
	v_mul_lo_u32 v8, s27, v5
	v_mad_u64_u32 v[5:6], null, s26, v5, 0
	v_mul_lo_u32 v7, s26, v7
	v_add3_u32 v6, v6, v7, v8
	v_lshlrev_b64 v[5:6], 3, v[5:6]
	v_add_co_u32 v5, vcc_lo, v12, v5
	v_add_co_ci_u32_e64 v6, null, v13, v6, vcc_lo
	global_load_dwordx2 v[6:7], v[5:6], off
.LBB14_9:                               ;   in Loop: Header=BB14_7 Depth=2
	s_or_b32 exec_lo, exec_lo, s12
	v_add_nc_u32_e32 v5, s8, v0
	s_waitcnt vmcnt(0)
	ds_write_b64 v14, v[6:7]
	v_cndmask_b32_e64 v8, v21, v5, s0
	v_cndmask_b32_e64 v9, v5, v21, s0
	v_cmp_gt_i32_e32 vcc_lo, v8, v9
	v_cndmask_b32_e32 v8, v5, v21, vcc_lo
	v_cndmask_b32_e32 v9, v21, v5, vcc_lo
	v_max_i32_e32 v5, v8, v9
	v_cmp_gt_i32_e32 vcc_lo, s30, v5
	v_mov_b32_e32 v5, 0
	s_and_saveexec_b32 s12, vcc_lo
	s_cbranch_execz .LBB14_11
; %bb.10:                               ;   in Loop: Header=BB14_7 Depth=2
	v_ashrrev_i32_e32 v6, 31, v9
	v_mul_lo_u32 v7, s19, v9
	v_mad_u64_u32 v[4:5], null, s18, v9, 0
	v_ashrrev_i32_e32 v9, 31, v8
	v_mul_lo_u32 v6, s18, v6
	v_add3_u32 v5, v5, v6, v7
	v_lshlrev_b64 v[6:7], 3, v[8:9]
	v_lshlrev_b64 v[4:5], 3, v[4:5]
	v_add_co_u32 v4, vcc_lo, s6, v4
	v_add_co_ci_u32_e64 v5, null, s9, v5, vcc_lo
	v_add_co_u32 v4, vcc_lo, v4, v6
	v_add_co_ci_u32_e64 v5, null, v5, v7, vcc_lo
	global_load_dwordx2 v[4:5], v[4:5], off
.LBB14_11:                              ;   in Loop: Header=BB14_7 Depth=2
	s_or_b32 exec_lo, exec_lo, s12
	s_waitcnt vmcnt(0)
	ds_write_b64 v15, v[4:5]
	s_waitcnt lgkmcnt(0)
	s_barrier
	buffer_gl0_inv
	s_and_saveexec_b32 s12, s2
	s_cbranch_execz .LBB14_6
; %bb.12:                               ;   in Loop: Header=BB14_7 Depth=2
	ds_read_b128 v[4:7], v10
	ds_read_b128 v[22:25], v10 offset:16
	ds_read_b128 v[26:29], v10 offset:32
	;; [unrolled: 1-line block ×3, first 2 shown]
	ds_read2_b64 v[34:37], v11 offset1:32
	s_waitcnt lgkmcnt(0)
	v_mul_f32_e32 v8, v35, v5
	v_mul_f32_e32 v5, v34, v5
	v_fma_f32 v8, v34, v4, -v8
	v_fmac_f32_e32 v5, v35, v4
	v_add_f32_e32 v4, 0, v8
	v_mul_f32_e32 v8, v37, v7
	v_mul_f32_e32 v7, v36, v7
	v_add_f32_e32 v5, 0, v5
	v_fma_f32 v8, v36, v6, -v8
	v_fmac_f32_e32 v7, v37, v6
	v_add_f32_e32 v8, v4, v8
	v_add_f32_e32 v9, v5, v7
	ds_read2_b64 v[4:7], v11 offset0:64 offset1:96
	s_waitcnt lgkmcnt(0)
	v_mul_f32_e32 v34, v5, v23
	v_fma_f32 v34, v4, v22, -v34
	v_mul_f32_e32 v4, v4, v23
	v_fmac_f32_e32 v4, v5, v22
	v_add_f32_e32 v5, v8, v34
	v_mul_f32_e32 v8, v7, v25
	v_add_f32_e32 v4, v9, v4
	v_fma_f32 v8, v6, v24, -v8
	v_mul_f32_e32 v6, v6, v25
	v_add_f32_e32 v8, v5, v8
	v_fmac_f32_e32 v6, v7, v24
	v_add_f32_e32 v9, v4, v6
	ds_read2_b64 v[4:7], v11 offset0:128 offset1:160
	s_waitcnt lgkmcnt(0)
	v_mul_f32_e32 v22, v5, v27
	v_fma_f32 v22, v4, v26, -v22
	v_mul_f32_e32 v4, v4, v27
	v_fmac_f32_e32 v4, v5, v26
	v_add_f32_e32 v5, v8, v22
	v_mul_f32_e32 v8, v7, v29
	v_add_f32_e32 v4, v9, v4
	v_fma_f32 v8, v6, v28, -v8
	v_mul_f32_e32 v6, v6, v29
	v_add_f32_e32 v8, v5, v8
	v_fmac_f32_e32 v6, v7, v28
	;; [unrolled: 14-line block ×3, first 2 shown]
	v_add_f32_e32 v9, v4, v6
	ds_read_b128 v[4:7], v10 offset:64
	ds_read2_b64 v[22:25], v18 offset1:32
	s_waitcnt lgkmcnt(0)
	v_mul_f32_e32 v26, v23, v5
	v_mul_f32_e32 v5, v22, v5
	v_fma_f32 v26, v22, v4, -v26
	v_fmac_f32_e32 v5, v23, v4
	v_add_f32_e32 v4, v8, v26
	v_mul_f32_e32 v8, v25, v7
	v_mul_f32_e32 v7, v24, v7
	v_add_f32_e32 v5, v9, v5
	v_fma_f32 v8, v24, v6, -v8
	v_fmac_f32_e32 v7, v25, v6
	v_add_f32_e32 v8, v4, v8
	v_add_f32_e32 v9, v5, v7
	ds_read_b128 v[4:7], v10 offset:80
	ds_read2_b64 v[22:25], v18 offset0:64 offset1:96
	s_waitcnt lgkmcnt(0)
	v_mul_f32_e32 v26, v23, v5
	v_mul_f32_e32 v5, v22, v5
	v_fma_f32 v26, v22, v4, -v26
	v_fmac_f32_e32 v5, v23, v4
	v_add_f32_e32 v4, v8, v26
	v_mul_f32_e32 v8, v25, v7
	v_mul_f32_e32 v7, v24, v7
	v_add_f32_e32 v5, v9, v5
	v_fma_f32 v8, v24, v6, -v8
	v_fmac_f32_e32 v7, v25, v6
	v_add_f32_e32 v8, v4, v8
	v_add_f32_e32 v9, v5, v7
	ds_read_b128 v[4:7], v10 offset:96
	ds_read2_b64 v[22:25], v18 offset0:128 offset1:160
	s_waitcnt lgkmcnt(0)
	v_mul_f32_e32 v26, v23, v5
	v_mul_f32_e32 v5, v22, v5
	v_fma_f32 v26, v22, v4, -v26
	v_fmac_f32_e32 v5, v23, v4
	v_add_f32_e32 v4, v8, v26
	v_mul_f32_e32 v8, v25, v7
	v_mul_f32_e32 v7, v24, v7
	v_add_f32_e32 v5, v9, v5
	v_fma_f32 v8, v24, v6, -v8
	v_fmac_f32_e32 v7, v25, v6
	v_add_f32_e32 v8, v4, v8
	v_add_f32_e32 v9, v5, v7
	ds_read_b128 v[4:7], v10 offset:112
	ds_read2_b64 v[22:25], v18 offset0:192 offset1:224
	s_waitcnt lgkmcnt(0)
	v_mul_f32_e32 v26, v23, v5
	v_mul_f32_e32 v5, v22, v5
	v_fma_f32 v26, v22, v4, -v26
	v_fmac_f32_e32 v5, v23, v4
	v_add_f32_e32 v4, v8, v26
	v_mul_f32_e32 v8, v25, v7
	v_mul_f32_e32 v7, v24, v7
	v_add_f32_e32 v5, v9, v5
	v_fma_f32 v8, v24, v6, -v8
	v_fmac_f32_e32 v7, v25, v6
	v_add_f32_e32 v8, v4, v8
	v_add_f32_e32 v9, v5, v7
	ds_read_b128 v[4:7], v10 offset:128
	ds_read2_b64 v[22:25], v19 offset1:32
	s_waitcnt lgkmcnt(0)
	v_mul_f32_e32 v26, v23, v5
	v_mul_f32_e32 v5, v22, v5
	v_fma_f32 v26, v22, v4, -v26
	v_fmac_f32_e32 v5, v23, v4
	v_add_f32_e32 v4, v8, v26
	v_mul_f32_e32 v8, v25, v7
	v_mul_f32_e32 v7, v24, v7
	v_add_f32_e32 v5, v9, v5
	v_fma_f32 v8, v24, v6, -v8
	v_fmac_f32_e32 v7, v25, v6
	v_add_f32_e32 v8, v4, v8
	v_add_f32_e32 v9, v5, v7
	ds_read_b128 v[4:7], v10 offset:144
	ds_read2_b64 v[22:25], v19 offset0:64 offset1:96
	s_waitcnt lgkmcnt(0)
	v_mul_f32_e32 v26, v23, v5
	v_mul_f32_e32 v5, v22, v5
	v_fma_f32 v26, v22, v4, -v26
	v_fmac_f32_e32 v5, v23, v4
	v_add_f32_e32 v4, v8, v26
	v_mul_f32_e32 v8, v25, v7
	v_mul_f32_e32 v7, v24, v7
	v_add_f32_e32 v5, v9, v5
	v_fma_f32 v8, v24, v6, -v8
	v_fmac_f32_e32 v7, v25, v6
	v_add_f32_e32 v8, v4, v8
	v_add_f32_e32 v9, v5, v7
	ds_read_b128 v[4:7], v10 offset:160
	ds_read2_b64 v[22:25], v19 offset0:128 offset1:160
	s_waitcnt lgkmcnt(0)
	v_mul_f32_e32 v26, v23, v5
	v_mul_f32_e32 v5, v22, v5
	v_fma_f32 v26, v22, v4, -v26
	v_fmac_f32_e32 v5, v23, v4
	v_add_f32_e32 v4, v8, v26
	v_mul_f32_e32 v8, v25, v7
	v_mul_f32_e32 v7, v24, v7
	v_add_f32_e32 v5, v9, v5
	v_fma_f32 v8, v24, v6, -v8
	v_fmac_f32_e32 v7, v25, v6
	v_add_f32_e32 v8, v4, v8
	v_add_f32_e32 v9, v5, v7
	ds_read_b128 v[4:7], v10 offset:176
	ds_read2_b64 v[22:25], v19 offset0:192 offset1:224
	s_waitcnt lgkmcnt(0)
	v_mul_f32_e32 v26, v23, v5
	v_mul_f32_e32 v5, v22, v5
	v_fma_f32 v26, v22, v4, -v26
	v_fmac_f32_e32 v5, v23, v4
	v_add_f32_e32 v4, v8, v26
	v_mul_f32_e32 v8, v25, v7
	v_mul_f32_e32 v7, v24, v7
	v_add_f32_e32 v5, v9, v5
	v_fma_f32 v8, v24, v6, -v8
	v_fmac_f32_e32 v7, v25, v6
	v_add_f32_e32 v8, v4, v8
	;; [unrolled: 60-line block ×3, first 2 shown]
	v_add_f32_e32 v7, v5, v7
	v_mul_f32_e32 v5, s11, v6
	v_mul_f32_e32 v4, s11, v7
	v_fmac_f32_e32 v5, s10, v7
	v_fma_f32 v4, s10, v6, -v4
	global_load_dwordx2 v[6:7], v[2:3], off
	s_waitcnt vmcnt(0)
	v_add_f32_e32 v4, v6, v4
	v_add_f32_e32 v5, v7, v5
	global_store_dwordx2 v[2:3], v[4:5], off
	s_branch .LBB14_6
.LBB14_13:
	s_endpgm
	.section	.rodata,"a",@progbits
	.p2align	6, 0x0
	.amdhsa_kernel _ZL24rocblas_symm_hemm_kernelILb0ELb1ELi32EPK19rocblas_complex_numIfES3_PS1_EvbiiT2_T3_lllS6_lllT4_llli
		.amdhsa_group_segment_fixed_size 16384
		.amdhsa_private_segment_fixed_size 0
		.amdhsa_kernarg_size 384
		.amdhsa_user_sgpr_count 6
		.amdhsa_user_sgpr_private_segment_buffer 1
		.amdhsa_user_sgpr_dispatch_ptr 0
		.amdhsa_user_sgpr_queue_ptr 0
		.amdhsa_user_sgpr_kernarg_segment_ptr 1
		.amdhsa_user_sgpr_dispatch_id 0
		.amdhsa_user_sgpr_flat_scratch_init 0
		.amdhsa_user_sgpr_private_segment_size 0
		.amdhsa_wavefront_size32 1
		.amdhsa_uses_dynamic_stack 0
		.amdhsa_system_sgpr_private_segment_wavefront_offset 0
		.amdhsa_system_sgpr_workgroup_id_x 1
		.amdhsa_system_sgpr_workgroup_id_y 1
		.amdhsa_system_sgpr_workgroup_id_z 1
		.amdhsa_system_sgpr_workgroup_info 0
		.amdhsa_system_vgpr_workitem_id 1
		.amdhsa_next_free_vgpr 38
		.amdhsa_next_free_sgpr 44
		.amdhsa_reserve_vcc 1
		.amdhsa_reserve_flat_scratch 0
		.amdhsa_float_round_mode_32 0
		.amdhsa_float_round_mode_16_64 0
		.amdhsa_float_denorm_mode_32 3
		.amdhsa_float_denorm_mode_16_64 3
		.amdhsa_dx10_clamp 1
		.amdhsa_ieee_mode 1
		.amdhsa_fp16_overflow 0
		.amdhsa_workgroup_processor_mode 1
		.amdhsa_memory_ordered 1
		.amdhsa_forward_progress 1
		.amdhsa_shared_vgpr_count 0
		.amdhsa_exception_fp_ieee_invalid_op 0
		.amdhsa_exception_fp_denorm_src 0
		.amdhsa_exception_fp_ieee_div_zero 0
		.amdhsa_exception_fp_ieee_overflow 0
		.amdhsa_exception_fp_ieee_underflow 0
		.amdhsa_exception_fp_ieee_inexact 0
		.amdhsa_exception_int_div_zero 0
	.end_amdhsa_kernel
	.section	.text._ZL24rocblas_symm_hemm_kernelILb0ELb1ELi32EPK19rocblas_complex_numIfES3_PS1_EvbiiT2_T3_lllS6_lllT4_llli,"axG",@progbits,_ZL24rocblas_symm_hemm_kernelILb0ELb1ELi32EPK19rocblas_complex_numIfES3_PS1_EvbiiT2_T3_lllS6_lllT4_llli,comdat
.Lfunc_end14:
	.size	_ZL24rocblas_symm_hemm_kernelILb0ELb1ELi32EPK19rocblas_complex_numIfES3_PS1_EvbiiT2_T3_lllS6_lllT4_llli, .Lfunc_end14-_ZL24rocblas_symm_hemm_kernelILb0ELb1ELi32EPK19rocblas_complex_numIfES3_PS1_EvbiiT2_T3_lllS6_lllT4_llli
                                        ; -- End function
	.set _ZL24rocblas_symm_hemm_kernelILb0ELb1ELi32EPK19rocblas_complex_numIfES3_PS1_EvbiiT2_T3_lllS6_lllT4_llli.num_vgpr, 38
	.set _ZL24rocblas_symm_hemm_kernelILb0ELb1ELi32EPK19rocblas_complex_numIfES3_PS1_EvbiiT2_T3_lllS6_lllT4_llli.num_agpr, 0
	.set _ZL24rocblas_symm_hemm_kernelILb0ELb1ELi32EPK19rocblas_complex_numIfES3_PS1_EvbiiT2_T3_lllS6_lllT4_llli.numbered_sgpr, 44
	.set _ZL24rocblas_symm_hemm_kernelILb0ELb1ELi32EPK19rocblas_complex_numIfES3_PS1_EvbiiT2_T3_lllS6_lllT4_llli.num_named_barrier, 0
	.set _ZL24rocblas_symm_hemm_kernelILb0ELb1ELi32EPK19rocblas_complex_numIfES3_PS1_EvbiiT2_T3_lllS6_lllT4_llli.private_seg_size, 0
	.set _ZL24rocblas_symm_hemm_kernelILb0ELb1ELi32EPK19rocblas_complex_numIfES3_PS1_EvbiiT2_T3_lllS6_lllT4_llli.uses_vcc, 1
	.set _ZL24rocblas_symm_hemm_kernelILb0ELb1ELi32EPK19rocblas_complex_numIfES3_PS1_EvbiiT2_T3_lllS6_lllT4_llli.uses_flat_scratch, 0
	.set _ZL24rocblas_symm_hemm_kernelILb0ELb1ELi32EPK19rocblas_complex_numIfES3_PS1_EvbiiT2_T3_lllS6_lllT4_llli.has_dyn_sized_stack, 0
	.set _ZL24rocblas_symm_hemm_kernelILb0ELb1ELi32EPK19rocblas_complex_numIfES3_PS1_EvbiiT2_T3_lllS6_lllT4_llli.has_recursion, 0
	.set _ZL24rocblas_symm_hemm_kernelILb0ELb1ELi32EPK19rocblas_complex_numIfES3_PS1_EvbiiT2_T3_lllS6_lllT4_llli.has_indirect_call, 0
	.section	.AMDGPU.csdata,"",@progbits
; Kernel info:
; codeLenInByte = 2084
; TotalNumSgprs: 46
; NumVgprs: 38
; ScratchSize: 0
; MemoryBound: 0
; FloatMode: 240
; IeeeMode: 1
; LDSByteSize: 16384 bytes/workgroup (compile time only)
; SGPRBlocks: 0
; VGPRBlocks: 4
; NumSGPRsForWavesPerEU: 46
; NumVGPRsForWavesPerEU: 38
; Occupancy: 16
; WaveLimiterHint : 0
; COMPUTE_PGM_RSRC2:SCRATCH_EN: 0
; COMPUTE_PGM_RSRC2:USER_SGPR: 6
; COMPUTE_PGM_RSRC2:TRAP_HANDLER: 0
; COMPUTE_PGM_RSRC2:TGID_X_EN: 1
; COMPUTE_PGM_RSRC2:TGID_Y_EN: 1
; COMPUTE_PGM_RSRC2:TGID_Z_EN: 1
; COMPUTE_PGM_RSRC2:TIDIG_COMP_CNT: 1
	.section	.text._ZL25rocblas_symm_scale_kernelILi128ELi8E19rocblas_complex_numIfEPS1_EviiT1_T2_llli,"axG",@progbits,_ZL25rocblas_symm_scale_kernelILi128ELi8E19rocblas_complex_numIfEPS1_EviiT1_T2_llli,comdat
	.globl	_ZL25rocblas_symm_scale_kernelILi128ELi8E19rocblas_complex_numIfEPS1_EviiT1_T2_llli ; -- Begin function _ZL25rocblas_symm_scale_kernelILi128ELi8E19rocblas_complex_numIfEPS1_EviiT1_T2_llli
	.p2align	8
	.type	_ZL25rocblas_symm_scale_kernelILi128ELi8E19rocblas_complex_numIfEPS1_EviiT1_T2_llli,@function
_ZL25rocblas_symm_scale_kernelILi128ELi8E19rocblas_complex_numIfEPS1_EviiT1_T2_llli: ; @_ZL25rocblas_symm_scale_kernelILi128ELi8E19rocblas_complex_numIfEPS1_EviiT1_T2_llli
; %bb.0:
	s_load_dwordx4 s[0:3], s[4:5], 0x0
	s_waitcnt lgkmcnt(0)
	v_cmp_eq_f32_e64 s9, s2, 1.0
	v_cmp_eq_f32_e64 s10, s3, 0
	s_and_b32 s9, s9, s10
	s_and_b32 vcc_lo, exec_lo, s9
	s_cbranch_vccnz .LBB15_6
; %bb.1:
	v_lshl_add_u32 v1, s7, 3, v1
	v_mov_b32_e32 v2, 0
	v_lshl_add_u32 v3, s6, 7, v0
	s_ashr_i32 s7, s1, 31
	s_mov_b32 s6, s1
	v_cmp_gt_i64_e32 vcc_lo, s[6:7], v[1:2]
	v_cmp_gt_u32_e64 s0, s0, v3
	s_and_b32 s0, s0, vcc_lo
	s_and_saveexec_b32 s1, s0
	s_cbranch_execz .LBB15_6
; %bb.2:
	s_clause 0x1
	s_load_dwordx8 s[12:19], s[4:5], 0x10
	s_load_dword s0, s[4:5], 0x3c
	s_or_b32 s1, s2, s3
	v_mov_b32_e32 v4, v2
	s_bitset0_b32 s1, 31
	s_cmp_lg_u32 s1, 0
	s_cselect_b32 s1, -1, 0
	v_lshlrev_b64 v[3:4], 3, v[3:4]
	s_waitcnt lgkmcnt(0)
	v_mad_u64_u32 v[5:6], null, s16, v1, 0
	s_mul_i32 s5, s19, s8
	s_mul_hi_u32 s9, s18, s8
	s_mul_i32 s4, s18, s8
	s_add_i32 s5, s9, s5
	s_lshl_b64 s[10:11], s[14:15], 3
	s_lshl_b64 s[4:5], s[4:5], 3
	v_mov_b32_e32 v0, v6
	s_lshl_b32 s8, s0, 3
	s_add_u32 s0, s10, s4
	s_addc_u32 s4, s11, s5
	s_mov_b32 s9, 0
	v_mad_u64_u32 v[6:7], null, s17, v1, v[0:1]
	v_lshlrev_b64 v[5:6], 3, v[5:6]
	v_add_co_u32 v0, vcc_lo, s0, v5
	v_add_co_ci_u32_e64 v5, null, s4, v6, vcc_lo
	s_mul_i32 s0, s17, s8
	v_add_co_u32 v0, vcc_lo, v0, v3
	v_add_co_ci_u32_e64 v3, null, v5, v4, vcc_lo
	s_mul_hi_u32 s4, s16, s8
	v_add_co_u32 v0, vcc_lo, s12, v0
	v_add_co_ci_u32_e64 v4, null, s13, v3, vcc_lo
	s_add_i32 s5, s4, s0
	v_add_co_u32 v3, vcc_lo, v0, 4
	v_add_co_ci_u32_e64 v4, null, 0, v4, vcc_lo
	s_mul_i32 s4, s16, s8
	s_lshl_b64 s[4:5], s[4:5], 3
	s_inst_prefetch 0x1
	s_branch .LBB15_4
	.p2align	6
.LBB15_3:                               ;   in Loop: Header=BB15_4 Depth=1
	v_add_co_u32 v1, vcc_lo, v1, s8
	v_add_co_ci_u32_e64 v2, null, 0, v2, vcc_lo
	global_store_dwordx2 v[3:4], v[5:6], off offset:-4
	v_add_co_u32 v3, s0, v3, s4
	v_cmp_le_i64_e32 vcc_lo, s[6:7], v[1:2]
	v_add_co_ci_u32_e64 v4, null, s5, v4, s0
	s_or_b32 s9, vcc_lo, s9
	s_andn2_b32 exec_lo, exec_lo, s9
	s_cbranch_execz .LBB15_6
.LBB15_4:                               ; =>This Inner Loop Header: Depth=1
	v_mov_b32_e32 v6, 0
	v_mov_b32_e32 v5, 0
	s_andn2_b32 vcc_lo, exec_lo, s1
	s_cbranch_vccnz .LBB15_3
; %bb.5:                                ;   in Loop: Header=BB15_4 Depth=1
	global_load_dwordx2 v[7:8], v[3:4], off offset:-4
	s_waitcnt vmcnt(0)
	v_mul_f32_e32 v0, s3, v8
	v_mul_f32_e32 v6, s2, v8
	v_fma_f32 v5, v7, s2, -v0
	v_fmac_f32_e32 v6, s3, v7
	s_branch .LBB15_3
.LBB15_6:
	s_inst_prefetch 0x2
	s_endpgm
	.section	.rodata,"a",@progbits
	.p2align	6, 0x0
	.amdhsa_kernel _ZL25rocblas_symm_scale_kernelILi128ELi8E19rocblas_complex_numIfEPS1_EviiT1_T2_llli
		.amdhsa_group_segment_fixed_size 0
		.amdhsa_private_segment_fixed_size 0
		.amdhsa_kernarg_size 312
		.amdhsa_user_sgpr_count 6
		.amdhsa_user_sgpr_private_segment_buffer 1
		.amdhsa_user_sgpr_dispatch_ptr 0
		.amdhsa_user_sgpr_queue_ptr 0
		.amdhsa_user_sgpr_kernarg_segment_ptr 1
		.amdhsa_user_sgpr_dispatch_id 0
		.amdhsa_user_sgpr_flat_scratch_init 0
		.amdhsa_user_sgpr_private_segment_size 0
		.amdhsa_wavefront_size32 1
		.amdhsa_uses_dynamic_stack 0
		.amdhsa_system_sgpr_private_segment_wavefront_offset 0
		.amdhsa_system_sgpr_workgroup_id_x 1
		.amdhsa_system_sgpr_workgroup_id_y 1
		.amdhsa_system_sgpr_workgroup_id_z 1
		.amdhsa_system_sgpr_workgroup_info 0
		.amdhsa_system_vgpr_workitem_id 1
		.amdhsa_next_free_vgpr 9
		.amdhsa_next_free_sgpr 20
		.amdhsa_reserve_vcc 1
		.amdhsa_reserve_flat_scratch 0
		.amdhsa_float_round_mode_32 0
		.amdhsa_float_round_mode_16_64 0
		.amdhsa_float_denorm_mode_32 3
		.amdhsa_float_denorm_mode_16_64 3
		.amdhsa_dx10_clamp 1
		.amdhsa_ieee_mode 1
		.amdhsa_fp16_overflow 0
		.amdhsa_workgroup_processor_mode 1
		.amdhsa_memory_ordered 1
		.amdhsa_forward_progress 1
		.amdhsa_shared_vgpr_count 0
		.amdhsa_exception_fp_ieee_invalid_op 0
		.amdhsa_exception_fp_denorm_src 0
		.amdhsa_exception_fp_ieee_div_zero 0
		.amdhsa_exception_fp_ieee_overflow 0
		.amdhsa_exception_fp_ieee_underflow 0
		.amdhsa_exception_fp_ieee_inexact 0
		.amdhsa_exception_int_div_zero 0
	.end_amdhsa_kernel
	.section	.text._ZL25rocblas_symm_scale_kernelILi128ELi8E19rocblas_complex_numIfEPS1_EviiT1_T2_llli,"axG",@progbits,_ZL25rocblas_symm_scale_kernelILi128ELi8E19rocblas_complex_numIfEPS1_EviiT1_T2_llli,comdat
.Lfunc_end15:
	.size	_ZL25rocblas_symm_scale_kernelILi128ELi8E19rocblas_complex_numIfEPS1_EviiT1_T2_llli, .Lfunc_end15-_ZL25rocblas_symm_scale_kernelILi128ELi8E19rocblas_complex_numIfEPS1_EviiT1_T2_llli
                                        ; -- End function
	.set _ZL25rocblas_symm_scale_kernelILi128ELi8E19rocblas_complex_numIfEPS1_EviiT1_T2_llli.num_vgpr, 9
	.set _ZL25rocblas_symm_scale_kernelILi128ELi8E19rocblas_complex_numIfEPS1_EviiT1_T2_llli.num_agpr, 0
	.set _ZL25rocblas_symm_scale_kernelILi128ELi8E19rocblas_complex_numIfEPS1_EviiT1_T2_llli.numbered_sgpr, 20
	.set _ZL25rocblas_symm_scale_kernelILi128ELi8E19rocblas_complex_numIfEPS1_EviiT1_T2_llli.num_named_barrier, 0
	.set _ZL25rocblas_symm_scale_kernelILi128ELi8E19rocblas_complex_numIfEPS1_EviiT1_T2_llli.private_seg_size, 0
	.set _ZL25rocblas_symm_scale_kernelILi128ELi8E19rocblas_complex_numIfEPS1_EviiT1_T2_llli.uses_vcc, 1
	.set _ZL25rocblas_symm_scale_kernelILi128ELi8E19rocblas_complex_numIfEPS1_EviiT1_T2_llli.uses_flat_scratch, 0
	.set _ZL25rocblas_symm_scale_kernelILi128ELi8E19rocblas_complex_numIfEPS1_EviiT1_T2_llli.has_dyn_sized_stack, 0
	.set _ZL25rocblas_symm_scale_kernelILi128ELi8E19rocblas_complex_numIfEPS1_EviiT1_T2_llli.has_recursion, 0
	.set _ZL25rocblas_symm_scale_kernelILi128ELi8E19rocblas_complex_numIfEPS1_EviiT1_T2_llli.has_indirect_call, 0
	.section	.AMDGPU.csdata,"",@progbits
; Kernel info:
; codeLenInByte = 436
; TotalNumSgprs: 22
; NumVgprs: 9
; ScratchSize: 0
; MemoryBound: 0
; FloatMode: 240
; IeeeMode: 1
; LDSByteSize: 0 bytes/workgroup (compile time only)
; SGPRBlocks: 0
; VGPRBlocks: 1
; NumSGPRsForWavesPerEU: 22
; NumVGPRsForWavesPerEU: 9
; Occupancy: 16
; WaveLimiterHint : 0
; COMPUTE_PGM_RSRC2:SCRATCH_EN: 0
; COMPUTE_PGM_RSRC2:USER_SGPR: 6
; COMPUTE_PGM_RSRC2:TRAP_HANDLER: 0
; COMPUTE_PGM_RSRC2:TGID_X_EN: 1
; COMPUTE_PGM_RSRC2:TGID_Y_EN: 1
; COMPUTE_PGM_RSRC2:TGID_Z_EN: 1
; COMPUTE_PGM_RSRC2:TIDIG_COMP_CNT: 1
	.section	.text._ZL24rocblas_symm_hemm_kernelILb0ELb0ELi32E19rocblas_complex_numIfEPKS1_PS1_EvbiiT2_T3_lllS6_lllT4_llli,"axG",@progbits,_ZL24rocblas_symm_hemm_kernelILb0ELb0ELi32E19rocblas_complex_numIfEPKS1_PS1_EvbiiT2_T3_lllS6_lllT4_llli,comdat
	.globl	_ZL24rocblas_symm_hemm_kernelILb0ELb0ELi32E19rocblas_complex_numIfEPKS1_PS1_EvbiiT2_T3_lllS6_lllT4_llli ; -- Begin function _ZL24rocblas_symm_hemm_kernelILb0ELb0ELi32E19rocblas_complex_numIfEPKS1_PS1_EvbiiT2_T3_lllS6_lllT4_llli
	.p2align	8
	.type	_ZL24rocblas_symm_hemm_kernelILb0ELb0ELi32E19rocblas_complex_numIfEPKS1_PS1_EvbiiT2_T3_lllS6_lllT4_llli,@function
_ZL24rocblas_symm_hemm_kernelILb0ELb0ELi32E19rocblas_complex_numIfEPKS1_PS1_EvbiiT2_T3_lllS6_lllT4_llli: ; @_ZL24rocblas_symm_hemm_kernelILb0ELb0ELi32E19rocblas_complex_numIfEPKS1_PS1_EvbiiT2_T3_lllS6_lllT4_llli
; %bb.0:
	s_clause 0x1
	s_load_dwordx4 s[28:31], s[4:5], 0x0
	s_load_dword s3, s[4:5], 0x10
	s_waitcnt lgkmcnt(0)
	v_cmp_eq_f32_e64 s0, s31, 0
	v_cmp_eq_f32_e64 s1, s3, 0
	s_and_b32 s0, s0, s1
	s_and_b32 vcc_lo, exec_lo, s0
	s_cbranch_vccnz .LBB16_13
; %bb.1:
	s_add_i32 s0, s30, -1
	s_ashr_i32 s1, s0, 31
	s_lshr_b32 s1, s1, 27
	s_add_i32 s0, s0, s1
	s_ashr_i32 s9, s0, 5
	s_cmp_gt_i32 s7, s9
	s_cbranch_scc1 .LBB16_13
; %bb.2:
	s_clause 0x2
	s_load_dwordx16 s[12:27], s[4:5], 0x18
	s_load_dwordx8 s[36:43], s[4:5], 0x58
	s_load_dword s4, s[4:5], 0x84
	v_lshl_add_u32 v2, s6, 5, v0
	v_lshlrev_b32_e32 v11, 8, v0
	v_lshlrev_b32_e32 v3, 3, v1
	v_cmp_gt_i32_e64 s0, s29, v2
	v_add_nc_u32_e32 v12, v11, v3
	v_or_b32_e32 v13, 0x2000, v3
	v_ashrrev_i32_e32 v3, 31, v2
	v_add_nc_u32_e32 v14, v13, v11
	v_lshlrev_b64 v[3:4], 3, v[2:3]
	v_add_nc_u32_e32 v15, 0x800, v13
	v_add_nc_u32_e32 v16, 0x1000, v13
	;; [unrolled: 1-line block ×3, first 2 shown]
	s_waitcnt lgkmcnt(0)
	s_mul_i32 s1, s19, s8
	s_mul_hi_u32 s2, s18, s8
	s_mul_i32 s10, s18, s8
	s_add_i32 s11, s2, s1
	s_mul_i32 s1, s27, s8
	s_lshl_b64 s[10:11], s[10:11], 3
	s_mul_hi_u32 s2, s26, s8
	s_add_u32 s5, s12, s10
	s_addc_u32 s6, s13, s11
	s_lshl_b64 s[10:11], s[14:15], 3
	s_mul_i32 s12, s26, s8
	s_add_u32 s5, s5, s10
	s_addc_u32 s6, s6, s11
	s_add_i32 s13, s2, s1
	s_mul_i32 s2, s43, s8
	s_lshl_b64 s[10:11], s[12:13], 3
	s_mul_hi_u32 s13, s42, s8
	s_add_u32 s1, s20, s10
	s_addc_u32 s12, s21, s11
	s_lshl_b64 s[10:11], s[22:23], 3
	s_add_u32 s10, s1, s10
	s_addc_u32 s11, s12, s11
	s_bitcmp1_b32 s28, 0
	s_mul_i32 s12, s42, s8
	s_cselect_b32 s1, -1, 0
	s_add_i32 s13, s13, s2
	s_lshl_b64 s[12:13], s[12:13], 3
	s_add_u32 s2, s36, s12
	s_addc_u32 s8, s37, s13
	s_lshl_b64 s[12:13], s[38:39], 3
	s_add_u32 s2, s2, s12
	s_addc_u32 s8, s8, s13
	v_add_co_u32 v17, vcc_lo, s2, v3
	v_add_co_ci_u32_e64 v18, null, s8, v4, vcc_lo
	s_cmp_gt_i32 s29, 0
	s_cselect_b32 s8, -1, 0
	s_branch .LBB16_4
.LBB16_3:                               ;   in Loop: Header=BB16_4 Depth=1
	s_add_i32 s7, s7, s4
	s_cmp_gt_i32 s7, s9
	s_cbranch_scc1 .LBB16_13
.LBB16_4:                               ; =>This Loop Header: Depth=1
                                        ;     Child Loop BB16_7 Depth 2
	s_andn2_b32 vcc_lo, exec_lo, s8
	s_cbranch_vccnz .LBB16_3
; %bb.5:                                ;   in Loop: Header=BB16_4 Depth=1
	v_lshl_add_u32 v7, s7, 5, v1
	s_mov_b32 s13, 0
	v_ashrrev_i32_e32 v8, 31, v7
	v_mul_lo_u32 v9, s25, v7
	v_mad_u64_u32 v[3:4], null, s24, v7, 0
	v_mul_lo_u32 v20, s41, v7
	v_mul_lo_u32 v10, s24, v8
	v_mad_u64_u32 v[5:6], null, s40, v7, 0
	v_mul_lo_u32 v8, s40, v8
	v_cmp_gt_i32_e32 vcc_lo, s30, v7
	v_add3_u32 v4, v4, v10, v9
	s_and_b32 s12, s0, vcc_lo
	v_add3_u32 v6, v6, v8, v20
	v_lshlrev_b64 v[3:4], 3, v[3:4]
	v_lshlrev_b64 v[5:6], 3, v[5:6]
	v_add_co_u32 v20, s2, s10, v3
	v_add_co_ci_u32_e64 v21, null, s11, v4, s2
	v_add_co_u32 v3, s2, v17, v5
	v_add_co_ci_u32_e64 v4, null, v18, v6, s2
	s_branch .LBB16_7
.LBB16_6:                               ;   in Loop: Header=BB16_7 Depth=2
	s_or_b32 exec_lo, exec_lo, s2
	s_add_i32 s13, s13, 32
	s_waitcnt_vscnt null, 0x0
	s_cmp_ge_i32 s13, s29
	s_barrier
	buffer_gl0_inv
	s_cbranch_scc1 .LBB16_3
.LBB16_7:                               ;   Parent Loop BB16_4 Depth=1
                                        ; =>  This Inner Loop Header: Depth=2
	v_add_nc_u32_e32 v5, s13, v1
	v_cndmask_b32_e64 v6, v5, v2, s1
	v_cndmask_b32_e64 v7, v2, v5, s1
	v_cmp_gt_i32_e64 s2, v6, v7
	v_mov_b32_e32 v7, 0
	v_cndmask_b32_e64 v6, v2, v5, s2
	v_cndmask_b32_e64 v9, v5, v2, s2
	v_mov_b32_e32 v5, 0
	v_max_i32_e32 v8, v6, v9
	v_cmp_gt_i32_e64 s2, s29, v8
	v_mov_b32_e32 v8, 0
	s_and_saveexec_b32 s14, s2
	s_cbranch_execz .LBB16_9
; %bb.8:                                ;   in Loop: Header=BB16_7 Depth=2
	v_ashrrev_i32_e32 v7, 31, v9
	v_mul_lo_u32 v10, s17, v9
	v_mad_u64_u32 v[8:9], null, s16, v9, 0
	v_mul_lo_u32 v7, s16, v7
	v_add3_u32 v9, v9, v7, v10
	v_ashrrev_i32_e32 v7, 31, v6
	v_lshlrev_b64 v[8:9], 3, v[8:9]
	v_lshlrev_b64 v[6:7], 3, v[6:7]
	v_add_co_u32 v8, s2, s5, v8
	v_add_co_ci_u32_e64 v9, null, s6, v9, s2
	v_add_co_u32 v6, s2, v8, v6
	v_add_co_ci_u32_e64 v7, null, v9, v7, s2
	global_load_dwordx2 v[7:8], v[6:7], off
.LBB16_9:                               ;   in Loop: Header=BB16_7 Depth=2
	s_or_b32 exec_lo, exec_lo, s14
	v_add_nc_u32_e32 v9, s13, v0
	v_mov_b32_e32 v6, 0
	s_waitcnt vmcnt(0)
	ds_write_b64 v12, v[7:8]
	v_cmp_gt_i32_e64 s2, s29, v9
	s_and_b32 s2, s2, vcc_lo
	s_and_saveexec_b32 s14, s2
	s_cbranch_execz .LBB16_11
; %bb.10:                               ;   in Loop: Header=BB16_7 Depth=2
	v_ashrrev_i32_e32 v10, 31, v9
	v_lshlrev_b64 v[5:6], 3, v[9:10]
	v_add_co_u32 v5, s2, v20, v5
	v_add_co_ci_u32_e64 v6, null, v21, v6, s2
	global_load_dwordx2 v[5:6], v[5:6], off
.LBB16_11:                              ;   in Loop: Header=BB16_7 Depth=2
	s_or_b32 exec_lo, exec_lo, s14
	s_waitcnt vmcnt(0)
	ds_write_b64 v14, v[5:6]
	s_waitcnt lgkmcnt(0)
	s_barrier
	buffer_gl0_inv
	s_and_saveexec_b32 s2, s12
	s_cbranch_execz .LBB16_6
; %bb.12:                               ;   in Loop: Header=BB16_7 Depth=2
	ds_read_b128 v[5:8], v11
	ds_read_b128 v[22:25], v11 offset:16
	ds_read_b128 v[26:29], v11 offset:32
	;; [unrolled: 1-line block ×3, first 2 shown]
	ds_read2_b64 v[34:37], v13 offset1:32
	s_waitcnt lgkmcnt(0)
	v_mul_f32_e32 v9, v35, v6
	v_mul_f32_e32 v6, v34, v6
	v_fma_f32 v9, v34, v5, -v9
	v_fmac_f32_e32 v6, v35, v5
	v_add_f32_e32 v5, 0, v9
	v_mul_f32_e32 v9, v37, v8
	v_mul_f32_e32 v8, v36, v8
	v_add_f32_e32 v6, 0, v6
	v_fma_f32 v9, v36, v7, -v9
	v_fmac_f32_e32 v8, v37, v7
	v_add_f32_e32 v9, v5, v9
	v_add_f32_e32 v10, v6, v8
	ds_read2_b64 v[5:8], v13 offset0:64 offset1:96
	s_waitcnt lgkmcnt(0)
	v_mul_f32_e32 v34, v6, v23
	v_fma_f32 v34, v5, v22, -v34
	v_mul_f32_e32 v5, v5, v23
	v_fmac_f32_e32 v5, v6, v22
	v_add_f32_e32 v6, v9, v34
	v_mul_f32_e32 v9, v8, v25
	v_add_f32_e32 v5, v10, v5
	v_fma_f32 v9, v7, v24, -v9
	v_mul_f32_e32 v7, v7, v25
	v_add_f32_e32 v9, v6, v9
	v_fmac_f32_e32 v7, v8, v24
	v_add_f32_e32 v10, v5, v7
	ds_read2_b64 v[5:8], v13 offset0:128 offset1:160
	s_waitcnt lgkmcnt(0)
	v_mul_f32_e32 v22, v6, v27
	v_fma_f32 v22, v5, v26, -v22
	v_mul_f32_e32 v5, v5, v27
	v_fmac_f32_e32 v5, v6, v26
	v_add_f32_e32 v6, v9, v22
	v_mul_f32_e32 v9, v8, v29
	v_add_f32_e32 v5, v10, v5
	v_fma_f32 v9, v7, v28, -v9
	v_mul_f32_e32 v7, v7, v29
	v_add_f32_e32 v9, v6, v9
	v_fmac_f32_e32 v7, v8, v28
	;; [unrolled: 14-line block ×3, first 2 shown]
	v_add_f32_e32 v10, v5, v7
	ds_read_b128 v[5:8], v11 offset:64
	ds_read2_b64 v[22:25], v15 offset1:32
	s_waitcnt lgkmcnt(0)
	v_mul_f32_e32 v26, v23, v6
	v_mul_f32_e32 v6, v22, v6
	v_fma_f32 v26, v22, v5, -v26
	v_fmac_f32_e32 v6, v23, v5
	v_add_f32_e32 v5, v9, v26
	v_mul_f32_e32 v9, v25, v8
	v_mul_f32_e32 v8, v24, v8
	v_add_f32_e32 v6, v10, v6
	v_fma_f32 v9, v24, v7, -v9
	v_fmac_f32_e32 v8, v25, v7
	v_add_f32_e32 v9, v5, v9
	v_add_f32_e32 v10, v6, v8
	ds_read_b128 v[5:8], v11 offset:80
	ds_read2_b64 v[22:25], v15 offset0:64 offset1:96
	s_waitcnt lgkmcnt(0)
	v_mul_f32_e32 v26, v23, v6
	v_mul_f32_e32 v6, v22, v6
	v_fma_f32 v26, v22, v5, -v26
	v_fmac_f32_e32 v6, v23, v5
	v_add_f32_e32 v5, v9, v26
	v_mul_f32_e32 v9, v25, v8
	v_mul_f32_e32 v8, v24, v8
	v_add_f32_e32 v6, v10, v6
	v_fma_f32 v9, v24, v7, -v9
	v_fmac_f32_e32 v8, v25, v7
	v_add_f32_e32 v9, v5, v9
	v_add_f32_e32 v10, v6, v8
	ds_read_b128 v[5:8], v11 offset:96
	ds_read2_b64 v[22:25], v15 offset0:128 offset1:160
	s_waitcnt lgkmcnt(0)
	v_mul_f32_e32 v26, v23, v6
	v_mul_f32_e32 v6, v22, v6
	v_fma_f32 v26, v22, v5, -v26
	v_fmac_f32_e32 v6, v23, v5
	v_add_f32_e32 v5, v9, v26
	v_mul_f32_e32 v9, v25, v8
	v_mul_f32_e32 v8, v24, v8
	v_add_f32_e32 v6, v10, v6
	v_fma_f32 v9, v24, v7, -v9
	v_fmac_f32_e32 v8, v25, v7
	v_add_f32_e32 v9, v5, v9
	v_add_f32_e32 v10, v6, v8
	ds_read_b128 v[5:8], v11 offset:112
	ds_read2_b64 v[22:25], v15 offset0:192 offset1:224
	s_waitcnt lgkmcnt(0)
	v_mul_f32_e32 v26, v23, v6
	v_mul_f32_e32 v6, v22, v6
	v_fma_f32 v26, v22, v5, -v26
	v_fmac_f32_e32 v6, v23, v5
	v_add_f32_e32 v5, v9, v26
	v_mul_f32_e32 v9, v25, v8
	v_mul_f32_e32 v8, v24, v8
	v_add_f32_e32 v6, v10, v6
	v_fma_f32 v9, v24, v7, -v9
	v_fmac_f32_e32 v8, v25, v7
	v_add_f32_e32 v9, v5, v9
	v_add_f32_e32 v10, v6, v8
	ds_read_b128 v[5:8], v11 offset:128
	ds_read2_b64 v[22:25], v16 offset1:32
	s_waitcnt lgkmcnt(0)
	v_mul_f32_e32 v26, v23, v6
	v_mul_f32_e32 v6, v22, v6
	v_fma_f32 v26, v22, v5, -v26
	v_fmac_f32_e32 v6, v23, v5
	v_add_f32_e32 v5, v9, v26
	v_mul_f32_e32 v9, v25, v8
	v_mul_f32_e32 v8, v24, v8
	v_add_f32_e32 v6, v10, v6
	v_fma_f32 v9, v24, v7, -v9
	v_fmac_f32_e32 v8, v25, v7
	v_add_f32_e32 v9, v5, v9
	v_add_f32_e32 v10, v6, v8
	ds_read_b128 v[5:8], v11 offset:144
	ds_read2_b64 v[22:25], v16 offset0:64 offset1:96
	s_waitcnt lgkmcnt(0)
	v_mul_f32_e32 v26, v23, v6
	v_mul_f32_e32 v6, v22, v6
	v_fma_f32 v26, v22, v5, -v26
	v_fmac_f32_e32 v6, v23, v5
	v_add_f32_e32 v5, v9, v26
	v_mul_f32_e32 v9, v25, v8
	v_mul_f32_e32 v8, v24, v8
	v_add_f32_e32 v6, v10, v6
	v_fma_f32 v9, v24, v7, -v9
	v_fmac_f32_e32 v8, v25, v7
	v_add_f32_e32 v9, v5, v9
	v_add_f32_e32 v10, v6, v8
	ds_read_b128 v[5:8], v11 offset:160
	ds_read2_b64 v[22:25], v16 offset0:128 offset1:160
	s_waitcnt lgkmcnt(0)
	v_mul_f32_e32 v26, v23, v6
	v_mul_f32_e32 v6, v22, v6
	v_fma_f32 v26, v22, v5, -v26
	v_fmac_f32_e32 v6, v23, v5
	v_add_f32_e32 v5, v9, v26
	v_mul_f32_e32 v9, v25, v8
	v_mul_f32_e32 v8, v24, v8
	v_add_f32_e32 v6, v10, v6
	v_fma_f32 v9, v24, v7, -v9
	v_fmac_f32_e32 v8, v25, v7
	v_add_f32_e32 v9, v5, v9
	v_add_f32_e32 v10, v6, v8
	ds_read_b128 v[5:8], v11 offset:176
	ds_read2_b64 v[22:25], v16 offset0:192 offset1:224
	s_waitcnt lgkmcnt(0)
	v_mul_f32_e32 v26, v23, v6
	v_mul_f32_e32 v6, v22, v6
	v_fma_f32 v26, v22, v5, -v26
	v_fmac_f32_e32 v6, v23, v5
	v_add_f32_e32 v5, v9, v26
	v_mul_f32_e32 v9, v25, v8
	v_mul_f32_e32 v8, v24, v8
	v_add_f32_e32 v6, v10, v6
	v_fma_f32 v9, v24, v7, -v9
	v_fmac_f32_e32 v8, v25, v7
	v_add_f32_e32 v9, v5, v9
	;; [unrolled: 60-line block ×3, first 2 shown]
	v_add_f32_e32 v8, v6, v8
	v_mul_f32_e32 v6, s3, v7
	v_mul_f32_e32 v5, s3, v8
	v_fmac_f32_e32 v6, s31, v8
	v_fma_f32 v5, s31, v7, -v5
	global_load_dwordx2 v[7:8], v[3:4], off
	s_waitcnt vmcnt(0)
	v_add_f32_e32 v5, v7, v5
	v_add_f32_e32 v6, v8, v6
	global_store_dwordx2 v[3:4], v[5:6], off
	s_branch .LBB16_6
.LBB16_13:
	s_endpgm
	.section	.rodata,"a",@progbits
	.p2align	6, 0x0
	.amdhsa_kernel _ZL24rocblas_symm_hemm_kernelILb0ELb0ELi32E19rocblas_complex_numIfEPKS1_PS1_EvbiiT2_T3_lllS6_lllT4_llli
		.amdhsa_group_segment_fixed_size 16384
		.amdhsa_private_segment_fixed_size 0
		.amdhsa_kernarg_size 384
		.amdhsa_user_sgpr_count 6
		.amdhsa_user_sgpr_private_segment_buffer 1
		.amdhsa_user_sgpr_dispatch_ptr 0
		.amdhsa_user_sgpr_queue_ptr 0
		.amdhsa_user_sgpr_kernarg_segment_ptr 1
		.amdhsa_user_sgpr_dispatch_id 0
		.amdhsa_user_sgpr_flat_scratch_init 0
		.amdhsa_user_sgpr_private_segment_size 0
		.amdhsa_wavefront_size32 1
		.amdhsa_uses_dynamic_stack 0
		.amdhsa_system_sgpr_private_segment_wavefront_offset 0
		.amdhsa_system_sgpr_workgroup_id_x 1
		.amdhsa_system_sgpr_workgroup_id_y 1
		.amdhsa_system_sgpr_workgroup_id_z 1
		.amdhsa_system_sgpr_workgroup_info 0
		.amdhsa_system_vgpr_workitem_id 1
		.amdhsa_next_free_vgpr 38
		.amdhsa_next_free_sgpr 44
		.amdhsa_reserve_vcc 1
		.amdhsa_reserve_flat_scratch 0
		.amdhsa_float_round_mode_32 0
		.amdhsa_float_round_mode_16_64 0
		.amdhsa_float_denorm_mode_32 3
		.amdhsa_float_denorm_mode_16_64 3
		.amdhsa_dx10_clamp 1
		.amdhsa_ieee_mode 1
		.amdhsa_fp16_overflow 0
		.amdhsa_workgroup_processor_mode 1
		.amdhsa_memory_ordered 1
		.amdhsa_forward_progress 1
		.amdhsa_shared_vgpr_count 0
		.amdhsa_exception_fp_ieee_invalid_op 0
		.amdhsa_exception_fp_denorm_src 0
		.amdhsa_exception_fp_ieee_div_zero 0
		.amdhsa_exception_fp_ieee_overflow 0
		.amdhsa_exception_fp_ieee_underflow 0
		.amdhsa_exception_fp_ieee_inexact 0
		.amdhsa_exception_int_div_zero 0
	.end_amdhsa_kernel
	.section	.text._ZL24rocblas_symm_hemm_kernelILb0ELb0ELi32E19rocblas_complex_numIfEPKS1_PS1_EvbiiT2_T3_lllS6_lllT4_llli,"axG",@progbits,_ZL24rocblas_symm_hemm_kernelILb0ELb0ELi32E19rocblas_complex_numIfEPKS1_PS1_EvbiiT2_T3_lllS6_lllT4_llli,comdat
.Lfunc_end16:
	.size	_ZL24rocblas_symm_hemm_kernelILb0ELb0ELi32E19rocblas_complex_numIfEPKS1_PS1_EvbiiT2_T3_lllS6_lllT4_llli, .Lfunc_end16-_ZL24rocblas_symm_hemm_kernelILb0ELb0ELi32E19rocblas_complex_numIfEPKS1_PS1_EvbiiT2_T3_lllS6_lllT4_llli
                                        ; -- End function
	.set _ZL24rocblas_symm_hemm_kernelILb0ELb0ELi32E19rocblas_complex_numIfEPKS1_PS1_EvbiiT2_T3_lllS6_lllT4_llli.num_vgpr, 38
	.set _ZL24rocblas_symm_hemm_kernelILb0ELb0ELi32E19rocblas_complex_numIfEPKS1_PS1_EvbiiT2_T3_lllS6_lllT4_llli.num_agpr, 0
	.set _ZL24rocblas_symm_hemm_kernelILb0ELb0ELi32E19rocblas_complex_numIfEPKS1_PS1_EvbiiT2_T3_lllS6_lllT4_llli.numbered_sgpr, 44
	.set _ZL24rocblas_symm_hemm_kernelILb0ELb0ELi32E19rocblas_complex_numIfEPKS1_PS1_EvbiiT2_T3_lllS6_lllT4_llli.num_named_barrier, 0
	.set _ZL24rocblas_symm_hemm_kernelILb0ELb0ELi32E19rocblas_complex_numIfEPKS1_PS1_EvbiiT2_T3_lllS6_lllT4_llli.private_seg_size, 0
	.set _ZL24rocblas_symm_hemm_kernelILb0ELb0ELi32E19rocblas_complex_numIfEPKS1_PS1_EvbiiT2_T3_lllS6_lllT4_llli.uses_vcc, 1
	.set _ZL24rocblas_symm_hemm_kernelILb0ELb0ELi32E19rocblas_complex_numIfEPKS1_PS1_EvbiiT2_T3_lllS6_lllT4_llli.uses_flat_scratch, 0
	.set _ZL24rocblas_symm_hemm_kernelILb0ELb0ELi32E19rocblas_complex_numIfEPKS1_PS1_EvbiiT2_T3_lllS6_lllT4_llli.has_dyn_sized_stack, 0
	.set _ZL24rocblas_symm_hemm_kernelILb0ELb0ELi32E19rocblas_complex_numIfEPKS1_PS1_EvbiiT2_T3_lllS6_lllT4_llli.has_recursion, 0
	.set _ZL24rocblas_symm_hemm_kernelILb0ELb0ELi32E19rocblas_complex_numIfEPKS1_PS1_EvbiiT2_T3_lllS6_lllT4_llli.has_indirect_call, 0
	.section	.AMDGPU.csdata,"",@progbits
; Kernel info:
; codeLenInByte = 2100
; TotalNumSgprs: 46
; NumVgprs: 38
; ScratchSize: 0
; MemoryBound: 0
; FloatMode: 240
; IeeeMode: 1
; LDSByteSize: 16384 bytes/workgroup (compile time only)
; SGPRBlocks: 0
; VGPRBlocks: 4
; NumSGPRsForWavesPerEU: 46
; NumVGPRsForWavesPerEU: 38
; Occupancy: 16
; WaveLimiterHint : 0
; COMPUTE_PGM_RSRC2:SCRATCH_EN: 0
; COMPUTE_PGM_RSRC2:USER_SGPR: 6
; COMPUTE_PGM_RSRC2:TRAP_HANDLER: 0
; COMPUTE_PGM_RSRC2:TGID_X_EN: 1
; COMPUTE_PGM_RSRC2:TGID_Y_EN: 1
; COMPUTE_PGM_RSRC2:TGID_Z_EN: 1
; COMPUTE_PGM_RSRC2:TIDIG_COMP_CNT: 1
	.section	.text._ZL24rocblas_symm_hemm_kernelILb0ELb1ELi32E19rocblas_complex_numIfEPKS1_PS1_EvbiiT2_T3_lllS6_lllT4_llli,"axG",@progbits,_ZL24rocblas_symm_hemm_kernelILb0ELb1ELi32E19rocblas_complex_numIfEPKS1_PS1_EvbiiT2_T3_lllS6_lllT4_llli,comdat
	.globl	_ZL24rocblas_symm_hemm_kernelILb0ELb1ELi32E19rocblas_complex_numIfEPKS1_PS1_EvbiiT2_T3_lllS6_lllT4_llli ; -- Begin function _ZL24rocblas_symm_hemm_kernelILb0ELb1ELi32E19rocblas_complex_numIfEPKS1_PS1_EvbiiT2_T3_lllS6_lllT4_llli
	.p2align	8
	.type	_ZL24rocblas_symm_hemm_kernelILb0ELb1ELi32E19rocblas_complex_numIfEPKS1_PS1_EvbiiT2_T3_lllS6_lllT4_llli,@function
_ZL24rocblas_symm_hemm_kernelILb0ELb1ELi32E19rocblas_complex_numIfEPKS1_PS1_EvbiiT2_T3_lllS6_lllT4_llli: ; @_ZL24rocblas_symm_hemm_kernelILb0ELb1ELi32E19rocblas_complex_numIfEPKS1_PS1_EvbiiT2_T3_lllS6_lllT4_llli
; %bb.0:
	s_clause 0x1
	s_load_dwordx4 s[28:31], s[4:5], 0x0
	s_load_dword s3, s[4:5], 0x10
	s_waitcnt lgkmcnt(0)
	v_cmp_eq_f32_e64 s0, s31, 0
	v_cmp_eq_f32_e64 s1, s3, 0
	s_and_b32 s0, s0, s1
	s_and_b32 vcc_lo, exec_lo, s0
	s_cbranch_vccnz .LBB17_13
; %bb.1:
	s_add_i32 s0, s30, -1
	s_ashr_i32 s1, s0, 31
	s_lshr_b32 s1, s1, 27
	s_add_i32 s0, s0, s1
	s_ashr_i32 s9, s0, 5
	s_cmp_gt_i32 s7, s9
	s_cbranch_scc1 .LBB17_13
; %bb.2:
	s_clause 0x1
	s_load_dwordx16 s[12:27], s[4:5], 0x18
	s_load_dwordx8 s[36:43], s[4:5], 0x58
	v_lshl_add_u32 v2, s6, 5, v0
	s_load_dword s4, s[4:5], 0x84
	v_lshlrev_b32_e32 v4, 3, v1
	v_lshlrev_b32_e32 v10, 8, v0
	v_ashrrev_i32_e32 v3, 31, v2
	v_cmp_gt_i32_e64 s0, s29, v2
	v_or_b32_e32 v12, 0x2000, v4
	v_add_nc_u32_e32 v11, v10, v4
	v_lshlrev_b64 v[2:3], 3, v[2:3]
	v_add_nc_u32_e32 v13, v12, v10
	v_add_nc_u32_e32 v18, 0x800, v12
	;; [unrolled: 1-line block ×4, first 2 shown]
	s_waitcnt lgkmcnt(0)
	s_mul_i32 s1, s19, s8
	s_mul_hi_u32 s2, s18, s8
	s_mul_i32 s10, s18, s8
	s_add_i32 s11, s2, s1
	s_mul_i32 s2, s43, s8
	s_lshl_b64 s[10:11], s[10:11], 3
	s_add_u32 s1, s12, s10
	s_addc_u32 s6, s13, s11
	s_lshl_b64 s[10:11], s[14:15], 3
	s_mul_hi_u32 s12, s42, s8
	s_add_u32 s5, s1, s10
	s_addc_u32 s6, s6, s11
	s_bitcmp1_b32 s28, 0
	s_mul_i32 s10, s42, s8
	s_cselect_b32 s1, -1, 0
	s_add_i32 s11, s12, s2
	s_mul_i32 s2, s27, s8
	s_lshl_b64 s[10:11], s[10:11], 3
	s_mul_hi_u32 s13, s26, s8
	s_add_u32 s14, s36, s10
	s_addc_u32 s15, s37, s11
	s_lshl_b64 s[10:11], s[38:39], 3
	s_mul_i32 s12, s26, s8
	s_add_u32 s8, s14, s10
	s_addc_u32 s14, s15, s11
	s_add_i32 s13, s13, s2
	s_lshl_b64 s[10:11], s[12:13], 3
	s_add_u32 s2, s20, s10
	s_addc_u32 s12, s21, s11
	s_lshl_b64 s[10:11], s[22:23], 3
	s_add_u32 s2, s2, s10
	s_addc_u32 s10, s12, s11
	v_add_co_u32 v14, vcc_lo, s2, v2
	v_add_co_ci_u32_e64 v15, null, s10, v3, vcc_lo
	v_add_co_u32 v16, vcc_lo, s8, v2
	v_add_co_ci_u32_e64 v17, null, s14, v3, vcc_lo
	s_cmp_gt_i32 s30, 0
	s_cselect_b32 s8, -1, 0
	s_branch .LBB17_4
.LBB17_3:                               ;   in Loop: Header=BB17_4 Depth=1
	s_add_i32 s7, s7, s4
	s_cmp_gt_i32 s7, s9
	s_cbranch_scc1 .LBB17_13
.LBB17_4:                               ; =>This Loop Header: Depth=1
                                        ;     Child Loop BB17_7 Depth 2
	s_andn2_b32 vcc_lo, exec_lo, s8
	s_cbranch_vccnz .LBB17_3
; %bb.5:                                ;   in Loop: Header=BB17_4 Depth=1
	v_lshl_add_u32 v21, s7, 5, v1
	s_mov_b32 s10, 0
	v_ashrrev_i32_e32 v4, 31, v21
	v_mul_lo_u32 v5, s41, v21
	v_mad_u64_u32 v[2:3], null, s40, v21, 0
	v_cmp_gt_i32_e32 vcc_lo, s30, v21
	v_mul_lo_u32 v4, s40, v4
	v_add3_u32 v3, v3, v4, v5
	v_lshlrev_b64 v[2:3], 3, v[2:3]
	v_add_co_u32 v2, s2, v16, v2
	v_add_co_ci_u32_e64 v3, null, v17, v3, s2
	s_and_b32 s2, s0, vcc_lo
	s_branch .LBB17_7
.LBB17_6:                               ;   in Loop: Header=BB17_7 Depth=2
	s_or_b32 exec_lo, exec_lo, s11
	s_add_i32 s10, s10, 32
	s_waitcnt_vscnt null, 0x0
	s_cmp_ge_i32 s10, s30
	s_barrier
	buffer_gl0_inv
	s_cbranch_scc1 .LBB17_3
.LBB17_7:                               ;   Parent Loop BB17_4 Depth=1
                                        ; =>  This Inner Loop Header: Depth=2
	v_add_nc_u32_e32 v5, s10, v1
	v_mov_b32_e32 v4, 0
	v_mov_b32_e32 v6, 0
	;; [unrolled: 1-line block ×3, first 2 shown]
	v_cmp_gt_i32_e32 vcc_lo, s30, v5
	s_and_b32 s12, s0, vcc_lo
	s_and_saveexec_b32 s11, s12
	s_cbranch_execz .LBB17_9
; %bb.8:                                ;   in Loop: Header=BB17_7 Depth=2
	v_ashrrev_i32_e32 v7, 31, v5
	v_mul_lo_u32 v8, s25, v5
	v_mad_u64_u32 v[5:6], null, s24, v5, 0
	v_mul_lo_u32 v7, s24, v7
	v_add3_u32 v6, v6, v7, v8
	v_lshlrev_b64 v[5:6], 3, v[5:6]
	v_add_co_u32 v5, vcc_lo, v14, v5
	v_add_co_ci_u32_e64 v6, null, v15, v6, vcc_lo
	global_load_dwordx2 v[6:7], v[5:6], off
.LBB17_9:                               ;   in Loop: Header=BB17_7 Depth=2
	s_or_b32 exec_lo, exec_lo, s11
	v_add_nc_u32_e32 v5, s10, v0
	s_waitcnt vmcnt(0)
	ds_write_b64 v11, v[6:7]
	v_cndmask_b32_e64 v8, v21, v5, s1
	v_cndmask_b32_e64 v9, v5, v21, s1
	v_cmp_gt_i32_e32 vcc_lo, v8, v9
	v_cndmask_b32_e32 v8, v5, v21, vcc_lo
	v_cndmask_b32_e32 v9, v21, v5, vcc_lo
	v_max_i32_e32 v5, v8, v9
	v_cmp_gt_i32_e32 vcc_lo, s30, v5
	v_mov_b32_e32 v5, 0
	s_and_saveexec_b32 s11, vcc_lo
	s_cbranch_execz .LBB17_11
; %bb.10:                               ;   in Loop: Header=BB17_7 Depth=2
	v_ashrrev_i32_e32 v6, 31, v9
	v_mul_lo_u32 v7, s17, v9
	v_mad_u64_u32 v[4:5], null, s16, v9, 0
	v_ashrrev_i32_e32 v9, 31, v8
	v_mul_lo_u32 v6, s16, v6
	v_add3_u32 v5, v5, v6, v7
	v_lshlrev_b64 v[6:7], 3, v[8:9]
	v_lshlrev_b64 v[4:5], 3, v[4:5]
	v_add_co_u32 v4, vcc_lo, s5, v4
	v_add_co_ci_u32_e64 v5, null, s6, v5, vcc_lo
	v_add_co_u32 v4, vcc_lo, v4, v6
	v_add_co_ci_u32_e64 v5, null, v5, v7, vcc_lo
	global_load_dwordx2 v[4:5], v[4:5], off
.LBB17_11:                              ;   in Loop: Header=BB17_7 Depth=2
	s_or_b32 exec_lo, exec_lo, s11
	s_waitcnt vmcnt(0)
	ds_write_b64 v13, v[4:5]
	s_waitcnt lgkmcnt(0)
	s_barrier
	buffer_gl0_inv
	s_and_saveexec_b32 s11, s2
	s_cbranch_execz .LBB17_6
; %bb.12:                               ;   in Loop: Header=BB17_7 Depth=2
	ds_read_b128 v[4:7], v10
	ds_read_b128 v[22:25], v10 offset:16
	ds_read_b128 v[26:29], v10 offset:32
	;; [unrolled: 1-line block ×3, first 2 shown]
	ds_read2_b64 v[34:37], v12 offset1:32
	s_waitcnt lgkmcnt(0)
	v_mul_f32_e32 v8, v35, v5
	v_mul_f32_e32 v5, v34, v5
	v_fma_f32 v8, v34, v4, -v8
	v_fmac_f32_e32 v5, v35, v4
	v_add_f32_e32 v4, 0, v8
	v_mul_f32_e32 v8, v37, v7
	v_mul_f32_e32 v7, v36, v7
	v_add_f32_e32 v5, 0, v5
	v_fma_f32 v8, v36, v6, -v8
	v_fmac_f32_e32 v7, v37, v6
	v_add_f32_e32 v8, v4, v8
	v_add_f32_e32 v9, v5, v7
	ds_read2_b64 v[4:7], v12 offset0:64 offset1:96
	s_waitcnt lgkmcnt(0)
	v_mul_f32_e32 v34, v5, v23
	v_fma_f32 v34, v4, v22, -v34
	v_mul_f32_e32 v4, v4, v23
	v_fmac_f32_e32 v4, v5, v22
	v_add_f32_e32 v5, v8, v34
	v_mul_f32_e32 v8, v7, v25
	v_add_f32_e32 v4, v9, v4
	v_fma_f32 v8, v6, v24, -v8
	v_mul_f32_e32 v6, v6, v25
	v_add_f32_e32 v8, v5, v8
	v_fmac_f32_e32 v6, v7, v24
	v_add_f32_e32 v9, v4, v6
	ds_read2_b64 v[4:7], v12 offset0:128 offset1:160
	s_waitcnt lgkmcnt(0)
	v_mul_f32_e32 v22, v5, v27
	v_fma_f32 v22, v4, v26, -v22
	v_mul_f32_e32 v4, v4, v27
	v_fmac_f32_e32 v4, v5, v26
	v_add_f32_e32 v5, v8, v22
	v_mul_f32_e32 v8, v7, v29
	v_add_f32_e32 v4, v9, v4
	v_fma_f32 v8, v6, v28, -v8
	v_mul_f32_e32 v6, v6, v29
	v_add_f32_e32 v8, v5, v8
	v_fmac_f32_e32 v6, v7, v28
	;; [unrolled: 14-line block ×3, first 2 shown]
	v_add_f32_e32 v9, v4, v6
	ds_read_b128 v[4:7], v10 offset:64
	ds_read2_b64 v[22:25], v18 offset1:32
	s_waitcnt lgkmcnt(0)
	v_mul_f32_e32 v26, v23, v5
	v_mul_f32_e32 v5, v22, v5
	v_fma_f32 v26, v22, v4, -v26
	v_fmac_f32_e32 v5, v23, v4
	v_add_f32_e32 v4, v8, v26
	v_mul_f32_e32 v8, v25, v7
	v_mul_f32_e32 v7, v24, v7
	v_add_f32_e32 v5, v9, v5
	v_fma_f32 v8, v24, v6, -v8
	v_fmac_f32_e32 v7, v25, v6
	v_add_f32_e32 v8, v4, v8
	v_add_f32_e32 v9, v5, v7
	ds_read_b128 v[4:7], v10 offset:80
	ds_read2_b64 v[22:25], v18 offset0:64 offset1:96
	s_waitcnt lgkmcnt(0)
	v_mul_f32_e32 v26, v23, v5
	v_mul_f32_e32 v5, v22, v5
	v_fma_f32 v26, v22, v4, -v26
	v_fmac_f32_e32 v5, v23, v4
	v_add_f32_e32 v4, v8, v26
	v_mul_f32_e32 v8, v25, v7
	v_mul_f32_e32 v7, v24, v7
	v_add_f32_e32 v5, v9, v5
	v_fma_f32 v8, v24, v6, -v8
	v_fmac_f32_e32 v7, v25, v6
	v_add_f32_e32 v8, v4, v8
	v_add_f32_e32 v9, v5, v7
	ds_read_b128 v[4:7], v10 offset:96
	ds_read2_b64 v[22:25], v18 offset0:128 offset1:160
	s_waitcnt lgkmcnt(0)
	v_mul_f32_e32 v26, v23, v5
	v_mul_f32_e32 v5, v22, v5
	v_fma_f32 v26, v22, v4, -v26
	v_fmac_f32_e32 v5, v23, v4
	v_add_f32_e32 v4, v8, v26
	v_mul_f32_e32 v8, v25, v7
	v_mul_f32_e32 v7, v24, v7
	v_add_f32_e32 v5, v9, v5
	v_fma_f32 v8, v24, v6, -v8
	v_fmac_f32_e32 v7, v25, v6
	v_add_f32_e32 v8, v4, v8
	v_add_f32_e32 v9, v5, v7
	ds_read_b128 v[4:7], v10 offset:112
	ds_read2_b64 v[22:25], v18 offset0:192 offset1:224
	s_waitcnt lgkmcnt(0)
	v_mul_f32_e32 v26, v23, v5
	v_mul_f32_e32 v5, v22, v5
	v_fma_f32 v26, v22, v4, -v26
	v_fmac_f32_e32 v5, v23, v4
	v_add_f32_e32 v4, v8, v26
	v_mul_f32_e32 v8, v25, v7
	v_mul_f32_e32 v7, v24, v7
	v_add_f32_e32 v5, v9, v5
	v_fma_f32 v8, v24, v6, -v8
	v_fmac_f32_e32 v7, v25, v6
	v_add_f32_e32 v8, v4, v8
	v_add_f32_e32 v9, v5, v7
	ds_read_b128 v[4:7], v10 offset:128
	ds_read2_b64 v[22:25], v19 offset1:32
	s_waitcnt lgkmcnt(0)
	v_mul_f32_e32 v26, v23, v5
	v_mul_f32_e32 v5, v22, v5
	v_fma_f32 v26, v22, v4, -v26
	v_fmac_f32_e32 v5, v23, v4
	v_add_f32_e32 v4, v8, v26
	v_mul_f32_e32 v8, v25, v7
	v_mul_f32_e32 v7, v24, v7
	v_add_f32_e32 v5, v9, v5
	v_fma_f32 v8, v24, v6, -v8
	v_fmac_f32_e32 v7, v25, v6
	v_add_f32_e32 v8, v4, v8
	v_add_f32_e32 v9, v5, v7
	ds_read_b128 v[4:7], v10 offset:144
	ds_read2_b64 v[22:25], v19 offset0:64 offset1:96
	s_waitcnt lgkmcnt(0)
	v_mul_f32_e32 v26, v23, v5
	v_mul_f32_e32 v5, v22, v5
	v_fma_f32 v26, v22, v4, -v26
	v_fmac_f32_e32 v5, v23, v4
	v_add_f32_e32 v4, v8, v26
	v_mul_f32_e32 v8, v25, v7
	v_mul_f32_e32 v7, v24, v7
	v_add_f32_e32 v5, v9, v5
	v_fma_f32 v8, v24, v6, -v8
	v_fmac_f32_e32 v7, v25, v6
	v_add_f32_e32 v8, v4, v8
	v_add_f32_e32 v9, v5, v7
	ds_read_b128 v[4:7], v10 offset:160
	ds_read2_b64 v[22:25], v19 offset0:128 offset1:160
	s_waitcnt lgkmcnt(0)
	v_mul_f32_e32 v26, v23, v5
	v_mul_f32_e32 v5, v22, v5
	v_fma_f32 v26, v22, v4, -v26
	v_fmac_f32_e32 v5, v23, v4
	v_add_f32_e32 v4, v8, v26
	v_mul_f32_e32 v8, v25, v7
	v_mul_f32_e32 v7, v24, v7
	v_add_f32_e32 v5, v9, v5
	v_fma_f32 v8, v24, v6, -v8
	v_fmac_f32_e32 v7, v25, v6
	v_add_f32_e32 v8, v4, v8
	v_add_f32_e32 v9, v5, v7
	ds_read_b128 v[4:7], v10 offset:176
	ds_read2_b64 v[22:25], v19 offset0:192 offset1:224
	s_waitcnt lgkmcnt(0)
	v_mul_f32_e32 v26, v23, v5
	v_mul_f32_e32 v5, v22, v5
	v_fma_f32 v26, v22, v4, -v26
	v_fmac_f32_e32 v5, v23, v4
	v_add_f32_e32 v4, v8, v26
	v_mul_f32_e32 v8, v25, v7
	v_mul_f32_e32 v7, v24, v7
	v_add_f32_e32 v5, v9, v5
	v_fma_f32 v8, v24, v6, -v8
	v_fmac_f32_e32 v7, v25, v6
	v_add_f32_e32 v8, v4, v8
	;; [unrolled: 60-line block ×3, first 2 shown]
	v_add_f32_e32 v7, v5, v7
	v_mul_f32_e32 v5, s3, v6
	v_mul_f32_e32 v4, s3, v7
	v_fmac_f32_e32 v5, s31, v7
	v_fma_f32 v4, s31, v6, -v4
	global_load_dwordx2 v[6:7], v[2:3], off
	s_waitcnt vmcnt(0)
	v_add_f32_e32 v4, v6, v4
	v_add_f32_e32 v5, v7, v5
	global_store_dwordx2 v[2:3], v[4:5], off
	s_branch .LBB17_6
.LBB17_13:
	s_endpgm
	.section	.rodata,"a",@progbits
	.p2align	6, 0x0
	.amdhsa_kernel _ZL24rocblas_symm_hemm_kernelILb0ELb1ELi32E19rocblas_complex_numIfEPKS1_PS1_EvbiiT2_T3_lllS6_lllT4_llli
		.amdhsa_group_segment_fixed_size 16384
		.amdhsa_private_segment_fixed_size 0
		.amdhsa_kernarg_size 384
		.amdhsa_user_sgpr_count 6
		.amdhsa_user_sgpr_private_segment_buffer 1
		.amdhsa_user_sgpr_dispatch_ptr 0
		.amdhsa_user_sgpr_queue_ptr 0
		.amdhsa_user_sgpr_kernarg_segment_ptr 1
		.amdhsa_user_sgpr_dispatch_id 0
		.amdhsa_user_sgpr_flat_scratch_init 0
		.amdhsa_user_sgpr_private_segment_size 0
		.amdhsa_wavefront_size32 1
		.amdhsa_uses_dynamic_stack 0
		.amdhsa_system_sgpr_private_segment_wavefront_offset 0
		.amdhsa_system_sgpr_workgroup_id_x 1
		.amdhsa_system_sgpr_workgroup_id_y 1
		.amdhsa_system_sgpr_workgroup_id_z 1
		.amdhsa_system_sgpr_workgroup_info 0
		.amdhsa_system_vgpr_workitem_id 1
		.amdhsa_next_free_vgpr 38
		.amdhsa_next_free_sgpr 44
		.amdhsa_reserve_vcc 1
		.amdhsa_reserve_flat_scratch 0
		.amdhsa_float_round_mode_32 0
		.amdhsa_float_round_mode_16_64 0
		.amdhsa_float_denorm_mode_32 3
		.amdhsa_float_denorm_mode_16_64 3
		.amdhsa_dx10_clamp 1
		.amdhsa_ieee_mode 1
		.amdhsa_fp16_overflow 0
		.amdhsa_workgroup_processor_mode 1
		.amdhsa_memory_ordered 1
		.amdhsa_forward_progress 1
		.amdhsa_shared_vgpr_count 0
		.amdhsa_exception_fp_ieee_invalid_op 0
		.amdhsa_exception_fp_denorm_src 0
		.amdhsa_exception_fp_ieee_div_zero 0
		.amdhsa_exception_fp_ieee_overflow 0
		.amdhsa_exception_fp_ieee_underflow 0
		.amdhsa_exception_fp_ieee_inexact 0
		.amdhsa_exception_int_div_zero 0
	.end_amdhsa_kernel
	.section	.text._ZL24rocblas_symm_hemm_kernelILb0ELb1ELi32E19rocblas_complex_numIfEPKS1_PS1_EvbiiT2_T3_lllS6_lllT4_llli,"axG",@progbits,_ZL24rocblas_symm_hemm_kernelILb0ELb1ELi32E19rocblas_complex_numIfEPKS1_PS1_EvbiiT2_T3_lllS6_lllT4_llli,comdat
.Lfunc_end17:
	.size	_ZL24rocblas_symm_hemm_kernelILb0ELb1ELi32E19rocblas_complex_numIfEPKS1_PS1_EvbiiT2_T3_lllS6_lllT4_llli, .Lfunc_end17-_ZL24rocblas_symm_hemm_kernelILb0ELb1ELi32E19rocblas_complex_numIfEPKS1_PS1_EvbiiT2_T3_lllS6_lllT4_llli
                                        ; -- End function
	.set _ZL24rocblas_symm_hemm_kernelILb0ELb1ELi32E19rocblas_complex_numIfEPKS1_PS1_EvbiiT2_T3_lllS6_lllT4_llli.num_vgpr, 38
	.set _ZL24rocblas_symm_hemm_kernelILb0ELb1ELi32E19rocblas_complex_numIfEPKS1_PS1_EvbiiT2_T3_lllS6_lllT4_llli.num_agpr, 0
	.set _ZL24rocblas_symm_hemm_kernelILb0ELb1ELi32E19rocblas_complex_numIfEPKS1_PS1_EvbiiT2_T3_lllS6_lllT4_llli.numbered_sgpr, 44
	.set _ZL24rocblas_symm_hemm_kernelILb0ELb1ELi32E19rocblas_complex_numIfEPKS1_PS1_EvbiiT2_T3_lllS6_lllT4_llli.num_named_barrier, 0
	.set _ZL24rocblas_symm_hemm_kernelILb0ELb1ELi32E19rocblas_complex_numIfEPKS1_PS1_EvbiiT2_T3_lllS6_lllT4_llli.private_seg_size, 0
	.set _ZL24rocblas_symm_hemm_kernelILb0ELb1ELi32E19rocblas_complex_numIfEPKS1_PS1_EvbiiT2_T3_lllS6_lllT4_llli.uses_vcc, 1
	.set _ZL24rocblas_symm_hemm_kernelILb0ELb1ELi32E19rocblas_complex_numIfEPKS1_PS1_EvbiiT2_T3_lllS6_lllT4_llli.uses_flat_scratch, 0
	.set _ZL24rocblas_symm_hemm_kernelILb0ELb1ELi32E19rocblas_complex_numIfEPKS1_PS1_EvbiiT2_T3_lllS6_lllT4_llli.has_dyn_sized_stack, 0
	.set _ZL24rocblas_symm_hemm_kernelILb0ELb1ELi32E19rocblas_complex_numIfEPKS1_PS1_EvbiiT2_T3_lllS6_lllT4_llli.has_recursion, 0
	.set _ZL24rocblas_symm_hemm_kernelILb0ELb1ELi32E19rocblas_complex_numIfEPKS1_PS1_EvbiiT2_T3_lllS6_lllT4_llli.has_indirect_call, 0
	.section	.AMDGPU.csdata,"",@progbits
; Kernel info:
; codeLenInByte = 2072
; TotalNumSgprs: 46
; NumVgprs: 38
; ScratchSize: 0
; MemoryBound: 0
; FloatMode: 240
; IeeeMode: 1
; LDSByteSize: 16384 bytes/workgroup (compile time only)
; SGPRBlocks: 0
; VGPRBlocks: 4
; NumSGPRsForWavesPerEU: 46
; NumVGPRsForWavesPerEU: 38
; Occupancy: 16
; WaveLimiterHint : 0
; COMPUTE_PGM_RSRC2:SCRATCH_EN: 0
; COMPUTE_PGM_RSRC2:USER_SGPR: 6
; COMPUTE_PGM_RSRC2:TRAP_HANDLER: 0
; COMPUTE_PGM_RSRC2:TGID_X_EN: 1
; COMPUTE_PGM_RSRC2:TGID_Y_EN: 1
; COMPUTE_PGM_RSRC2:TGID_Z_EN: 1
; COMPUTE_PGM_RSRC2:TIDIG_COMP_CNT: 1
	.section	.text._ZL25rocblas_symm_scale_kernelILi128ELi8EPK19rocblas_complex_numIdEPS1_EviiT1_T2_llli,"axG",@progbits,_ZL25rocblas_symm_scale_kernelILi128ELi8EPK19rocblas_complex_numIdEPS1_EviiT1_T2_llli,comdat
	.globl	_ZL25rocblas_symm_scale_kernelILi128ELi8EPK19rocblas_complex_numIdEPS1_EviiT1_T2_llli ; -- Begin function _ZL25rocblas_symm_scale_kernelILi128ELi8EPK19rocblas_complex_numIdEPS1_EviiT1_T2_llli
	.p2align	8
	.type	_ZL25rocblas_symm_scale_kernelILi128ELi8EPK19rocblas_complex_numIdEPS1_EviiT1_T2_llli,@function
_ZL25rocblas_symm_scale_kernelILi128ELi8EPK19rocblas_complex_numIdEPS1_EviiT1_T2_llli: ; @_ZL25rocblas_symm_scale_kernelILi128ELi8EPK19rocblas_complex_numIdEPS1_EviiT1_T2_llli
; %bb.0:
	s_load_dwordx8 s[12:19], s[4:5], 0x8
	s_waitcnt lgkmcnt(0)
	s_load_dwordx4 s[20:23], s[12:13], 0x0
	s_waitcnt lgkmcnt(0)
	v_cmp_eq_f64_e64 s0, s[20:21], 1.0
	v_cmp_eq_f64_e64 s1, s[22:23], 0
	s_and_b32 s0, s0, s1
	s_and_b32 vcc_lo, exec_lo, s0
	s_cbranch_vccnz .LBB18_6
; %bb.1:
	s_load_dwordx2 s[0:1], s[4:5], 0x0
	v_lshl_add_u32 v4, s7, 3, v1
	v_mov_b32_e32 v5, 0
	v_lshl_add_u32 v0, s6, 7, v0
	s_waitcnt lgkmcnt(0)
	s_ashr_i32 s3, s1, 31
	s_mov_b32 s2, s1
	v_cmp_gt_u32_e64 s0, s0, v0
	v_cmp_gt_i64_e32 vcc_lo, s[2:3], v[4:5]
	s_and_b32 s0, s0, vcc_lo
	s_and_saveexec_b32 s1, s0
	s_cbranch_execz .LBB18_6
; %bb.2:
	v_mad_u64_u32 v[2:3], null, s18, v4, 0
	s_clause 0x1
	s_load_dword s0, s[4:5], 0x3c
	s_load_dwordx2 s[4:5], s[4:5], 0x28
	v_cmp_neq_f64_e64 s6, s[20:21], 0
	v_cmp_neq_f64_e64 s7, s[22:23], 0
	s_lshl_b64 s[10:11], s[16:17], 4
	v_mov_b32_e32 v1, v3
	v_mad_u64_u32 v[6:7], null, s19, v4, v[1:2]
	v_mov_b32_e32 v1, v5
	v_lshlrev_b64 v[0:1], 4, v[0:1]
	v_mov_b32_e32 v3, v6
	s_waitcnt lgkmcnt(0)
	s_lshl_b32 s1, s0, 3
	s_mul_i32 s0, s5, s8
	s_mul_hi_u32 s5, s4, s8
	s_mul_i32 s4, s4, s8
	s_add_i32 s5, s5, s0
	v_lshlrev_b64 v[2:3], 4, v[2:3]
	s_lshl_b64 s[4:5], s[4:5], 4
	s_or_b32 s6, s6, s7
	s_add_u32 s0, s10, s4
	s_addc_u32 s4, s11, s5
	s_mov_b32 s7, 0
	v_add_co_u32 v2, vcc_lo, s0, v2
	v_add_co_ci_u32_e64 v3, null, s4, v3, vcc_lo
	s_mul_i32 s0, s19, s1
	v_add_co_u32 v0, vcc_lo, v2, v0
	v_add_co_ci_u32_e64 v1, null, v3, v1, vcc_lo
	s_mul_hi_u32 s4, s18, s1
	v_add_co_u32 v0, vcc_lo, s14, v0
	v_add_co_ci_u32_e64 v1, null, s15, v1, vcc_lo
	s_add_i32 s5, s4, s0
	v_add_co_u32 v6, vcc_lo, v0, 8
	v_add_co_ci_u32_e64 v7, null, 0, v1, vcc_lo
	s_mul_i32 s4, s18, s1
	s_lshl_b64 s[4:5], s[4:5], 4
	s_inst_prefetch 0x1
	s_branch .LBB18_4
	.p2align	6
.LBB18_3:                               ;   in Loop: Header=BB18_4 Depth=1
	v_add_co_u32 v4, vcc_lo, v4, s1
	v_add_co_ci_u32_e64 v5, null, 0, v5, vcc_lo
	global_store_dwordx4 v[6:7], v[0:3], off offset:-8
	v_add_co_u32 v6, s0, v6, s4
	v_cmp_le_i64_e32 vcc_lo, s[2:3], v[4:5]
	v_add_co_ci_u32_e64 v7, null, s5, v7, s0
	s_or_b32 s7, vcc_lo, s7
	s_andn2_b32 exec_lo, exec_lo, s7
	s_cbranch_execz .LBB18_6
.LBB18_4:                               ; =>This Inner Loop Header: Depth=1
	v_mov_b32_e32 v2, 0
	v_mov_b32_e32 v0, 0
	;; [unrolled: 1-line block ×4, first 2 shown]
	s_andn2_b32 vcc_lo, exec_lo, s6
	s_cbranch_vccnz .LBB18_3
; %bb.5:                                ;   in Loop: Header=BB18_4 Depth=1
	global_load_dwordx4 v[8:11], v[6:7], off offset:-8
	s_waitcnt vmcnt(0)
	v_mul_f64 v[0:1], s[22:23], v[10:11]
	v_mul_f64 v[2:3], s[20:21], v[10:11]
	v_fma_f64 v[0:1], s[20:21], v[8:9], -v[0:1]
	v_fma_f64 v[2:3], s[22:23], v[8:9], v[2:3]
	s_branch .LBB18_3
.LBB18_6:
	s_inst_prefetch 0x2
	s_endpgm
	.section	.rodata,"a",@progbits
	.p2align	6, 0x0
	.amdhsa_kernel _ZL25rocblas_symm_scale_kernelILi128ELi8EPK19rocblas_complex_numIdEPS1_EviiT1_T2_llli
		.amdhsa_group_segment_fixed_size 0
		.amdhsa_private_segment_fixed_size 0
		.amdhsa_kernarg_size 312
		.amdhsa_user_sgpr_count 6
		.amdhsa_user_sgpr_private_segment_buffer 1
		.amdhsa_user_sgpr_dispatch_ptr 0
		.amdhsa_user_sgpr_queue_ptr 0
		.amdhsa_user_sgpr_kernarg_segment_ptr 1
		.amdhsa_user_sgpr_dispatch_id 0
		.amdhsa_user_sgpr_flat_scratch_init 0
		.amdhsa_user_sgpr_private_segment_size 0
		.amdhsa_wavefront_size32 1
		.amdhsa_uses_dynamic_stack 0
		.amdhsa_system_sgpr_private_segment_wavefront_offset 0
		.amdhsa_system_sgpr_workgroup_id_x 1
		.amdhsa_system_sgpr_workgroup_id_y 1
		.amdhsa_system_sgpr_workgroup_id_z 1
		.amdhsa_system_sgpr_workgroup_info 0
		.amdhsa_system_vgpr_workitem_id 1
		.amdhsa_next_free_vgpr 12
		.amdhsa_next_free_sgpr 24
		.amdhsa_reserve_vcc 1
		.amdhsa_reserve_flat_scratch 0
		.amdhsa_float_round_mode_32 0
		.amdhsa_float_round_mode_16_64 0
		.amdhsa_float_denorm_mode_32 3
		.amdhsa_float_denorm_mode_16_64 3
		.amdhsa_dx10_clamp 1
		.amdhsa_ieee_mode 1
		.amdhsa_fp16_overflow 0
		.amdhsa_workgroup_processor_mode 1
		.amdhsa_memory_ordered 1
		.amdhsa_forward_progress 1
		.amdhsa_shared_vgpr_count 0
		.amdhsa_exception_fp_ieee_invalid_op 0
		.amdhsa_exception_fp_denorm_src 0
		.amdhsa_exception_fp_ieee_div_zero 0
		.amdhsa_exception_fp_ieee_overflow 0
		.amdhsa_exception_fp_ieee_underflow 0
		.amdhsa_exception_fp_ieee_inexact 0
		.amdhsa_exception_int_div_zero 0
	.end_amdhsa_kernel
	.section	.text._ZL25rocblas_symm_scale_kernelILi128ELi8EPK19rocblas_complex_numIdEPS1_EviiT1_T2_llli,"axG",@progbits,_ZL25rocblas_symm_scale_kernelILi128ELi8EPK19rocblas_complex_numIdEPS1_EviiT1_T2_llli,comdat
.Lfunc_end18:
	.size	_ZL25rocblas_symm_scale_kernelILi128ELi8EPK19rocblas_complex_numIdEPS1_EviiT1_T2_llli, .Lfunc_end18-_ZL25rocblas_symm_scale_kernelILi128ELi8EPK19rocblas_complex_numIdEPS1_EviiT1_T2_llli
                                        ; -- End function
	.set _ZL25rocblas_symm_scale_kernelILi128ELi8EPK19rocblas_complex_numIdEPS1_EviiT1_T2_llli.num_vgpr, 12
	.set _ZL25rocblas_symm_scale_kernelILi128ELi8EPK19rocblas_complex_numIdEPS1_EviiT1_T2_llli.num_agpr, 0
	.set _ZL25rocblas_symm_scale_kernelILi128ELi8EPK19rocblas_complex_numIdEPS1_EviiT1_T2_llli.numbered_sgpr, 24
	.set _ZL25rocblas_symm_scale_kernelILi128ELi8EPK19rocblas_complex_numIdEPS1_EviiT1_T2_llli.num_named_barrier, 0
	.set _ZL25rocblas_symm_scale_kernelILi128ELi8EPK19rocblas_complex_numIdEPS1_EviiT1_T2_llli.private_seg_size, 0
	.set _ZL25rocblas_symm_scale_kernelILi128ELi8EPK19rocblas_complex_numIdEPS1_EviiT1_T2_llli.uses_vcc, 1
	.set _ZL25rocblas_symm_scale_kernelILi128ELi8EPK19rocblas_complex_numIdEPS1_EviiT1_T2_llli.uses_flat_scratch, 0
	.set _ZL25rocblas_symm_scale_kernelILi128ELi8EPK19rocblas_complex_numIdEPS1_EviiT1_T2_llli.has_dyn_sized_stack, 0
	.set _ZL25rocblas_symm_scale_kernelILi128ELi8EPK19rocblas_complex_numIdEPS1_EviiT1_T2_llli.has_recursion, 0
	.set _ZL25rocblas_symm_scale_kernelILi128ELi8EPK19rocblas_complex_numIdEPS1_EviiT1_T2_llli.has_indirect_call, 0
	.section	.AMDGPU.csdata,"",@progbits
; Kernel info:
; codeLenInByte = 520
; TotalNumSgprs: 26
; NumVgprs: 12
; ScratchSize: 0
; MemoryBound: 0
; FloatMode: 240
; IeeeMode: 1
; LDSByteSize: 0 bytes/workgroup (compile time only)
; SGPRBlocks: 0
; VGPRBlocks: 1
; NumSGPRsForWavesPerEU: 26
; NumVGPRsForWavesPerEU: 12
; Occupancy: 16
; WaveLimiterHint : 0
; COMPUTE_PGM_RSRC2:SCRATCH_EN: 0
; COMPUTE_PGM_RSRC2:USER_SGPR: 6
; COMPUTE_PGM_RSRC2:TRAP_HANDLER: 0
; COMPUTE_PGM_RSRC2:TGID_X_EN: 1
; COMPUTE_PGM_RSRC2:TGID_Y_EN: 1
; COMPUTE_PGM_RSRC2:TGID_Z_EN: 1
; COMPUTE_PGM_RSRC2:TIDIG_COMP_CNT: 1
	.section	.text._ZL24rocblas_symm_hemm_kernelILb0ELb0ELi32EPK19rocblas_complex_numIdES3_PS1_EvbiiT2_T3_lllS6_lllT4_llli,"axG",@progbits,_ZL24rocblas_symm_hemm_kernelILb0ELb0ELi32EPK19rocblas_complex_numIdES3_PS1_EvbiiT2_T3_lllS6_lllT4_llli,comdat
	.globl	_ZL24rocblas_symm_hemm_kernelILb0ELb0ELi32EPK19rocblas_complex_numIdES3_PS1_EvbiiT2_T3_lllS6_lllT4_llli ; -- Begin function _ZL24rocblas_symm_hemm_kernelILb0ELb0ELi32EPK19rocblas_complex_numIdES3_PS1_EvbiiT2_T3_lllS6_lllT4_llli
	.p2align	8
	.type	_ZL24rocblas_symm_hemm_kernelILb0ELb0ELi32EPK19rocblas_complex_numIdES3_PS1_EvbiiT2_T3_lllS6_lllT4_llli,@function
_ZL24rocblas_symm_hemm_kernelILb0ELb0ELi32EPK19rocblas_complex_numIdES3_PS1_EvbiiT2_T3_lllS6_lllT4_llli: ; @_ZL24rocblas_symm_hemm_kernelILb0ELb0ELi32EPK19rocblas_complex_numIdES3_PS1_EvbiiT2_T3_lllS6_lllT4_llli
; %bb.0:
	s_load_dwordx16 s[12:27], s[4:5], 0x10
	s_waitcnt lgkmcnt(0)
	s_load_dwordx4 s[28:31], s[12:13], 0x0
	s_waitcnt lgkmcnt(0)
	v_cmp_eq_f64_e64 s0, s[28:29], 0
	v_cmp_eq_f64_e64 s1, s[30:31], 0
	s_and_b32 s0, s0, s1
	s_and_b32 vcc_lo, exec_lo, s0
	s_cbranch_vccnz .LBB19_15
; %bb.1:
	s_load_dwordx4 s[44:47], s[4:5], 0x0
	s_waitcnt lgkmcnt(0)
	s_add_i32 s0, s46, -1
	s_ashr_i32 s1, s0, 31
	s_lshr_b32 s1, s1, 27
	s_add_i32 s0, s0, s1
	s_ashr_i32 s3, s0, 5
	s_cmp_gt_i32 s7, s3
	s_cbranch_scc1 .LBB19_15
; %bb.2:
	s_clause 0x1
	s_load_dwordx8 s[36:43], s[4:5], 0x50
	s_load_dwordx2 s[0:1], s[4:5], 0x70
	s_mul_i32 s2, s21, s8
	s_mul_hi_u32 s9, s20, s8
	s_mul_i32 s10, s20, s8
	s_add_i32 s11, s9, s2
	v_lshl_add_u32 v10, s6, 5, v0
	s_lshl_b64 s[10:11], s[10:11], 4
	s_load_dword s4, s[4:5], 0x84
	s_add_u32 s2, s14, s10
	s_addc_u32 s6, s15, s11
	s_lshl_b64 s[10:11], s[16:17], 4
	v_lshlrev_b32_e32 v15, 9, v0
	s_add_u32 s5, s2, s10
	s_addc_u32 s6, s6, s11
	v_lshlrev_b32_e32 v2, 4, v1
	v_ashrrev_i32_e32 v11, 31, v10
	v_add_nc_u32_e32 v16, v15, v2
	s_waitcnt lgkmcnt(0)
	s_mul_i32 s2, s37, s8
	s_mul_hi_u32 s9, s36, s8
	s_mul_i32 s10, s36, s8
	s_add_i32 s11, s9, s2
	s_mul_i32 s1, s1, s8
	s_lshl_b64 s[10:11], s[10:11], 4
	s_mul_hi_u32 s13, s0, s8
	s_add_u32 s2, s22, s10
	s_addc_u32 s12, s23, s11
	s_lshl_b64 s[10:11], s[24:25], 4
	v_or_b32_e32 v17, 0x4000, v2
	s_add_u32 s9, s2, s10
	s_addc_u32 s10, s12, s11
	s_bitcmp1_b32 s44, 0
	s_mul_i32 s12, s0, s8
	s_cselect_b32 s0, -1, 0
	s_add_i32 s13, s13, s1
	v_lshlrev_b64 v[2:3], 4, v[10:11]
	s_lshl_b64 s[12:13], s[12:13], 4
	v_add_nc_u32_e32 v18, v17, v15
	s_add_u32 s1, s38, s12
	s_addc_u32 s2, s39, s13
	s_lshl_b64 s[12:13], s[40:41], 4
	s_add_u32 s8, s1, s12
	s_addc_u32 s2, s2, s13
	v_add_co_u32 v19, vcc_lo, s8, v2
	v_cmp_gt_i32_e64 s1, s45, v10
	v_add_co_ci_u32_e64 v20, null, s2, v3, vcc_lo
	s_cmp_gt_i32 s45, 0
	s_cselect_b32 s8, -1, 0
	s_branch .LBB19_4
.LBB19_3:                               ;   in Loop: Header=BB19_4 Depth=1
	s_add_i32 s7, s7, s4
	s_cmp_gt_i32 s7, s3
	s_cbranch_scc1 .LBB19_15
.LBB19_4:                               ; =>This Loop Header: Depth=1
                                        ;     Child Loop BB19_7 Depth 2
                                        ;       Child Loop BB19_13 Depth 3
	s_andn2_b32 vcc_lo, exec_lo, s8
	s_cbranch_vccnz .LBB19_3
; %bb.5:                                ;   in Loop: Header=BB19_4 Depth=1
	v_lshl_add_u32 v6, s7, 5, v1
	s_mov_b32 s12, 0
	v_ashrrev_i32_e32 v7, 31, v6
	v_mul_lo_u32 v8, s27, v6
	v_mad_u64_u32 v[2:3], null, s26, v6, 0
	v_mul_lo_u32 v11, s43, v6
	v_mul_lo_u32 v9, s26, v7
	v_mad_u64_u32 v[4:5], null, s42, v6, 0
	v_mul_lo_u32 v7, s42, v7
	v_cmp_gt_i32_e32 vcc_lo, s46, v6
	v_add3_u32 v3, v3, v9, v8
	s_and_b32 s11, s1, vcc_lo
	v_add3_u32 v5, v5, v7, v11
	v_lshlrev_b64 v[2:3], 4, v[2:3]
	v_lshlrev_b64 v[4:5], 4, v[4:5]
	v_add_co_u32 v21, s2, s9, v2
	v_add_co_ci_u32_e64 v22, null, s10, v3, s2
	v_add_co_u32 v11, s2, v19, v4
	v_add_co_ci_u32_e64 v12, null, v20, v5, s2
	s_branch .LBB19_7
.LBB19_6:                               ;   in Loop: Header=BB19_7 Depth=2
	s_or_b32 exec_lo, exec_lo, s2
	s_add_i32 s12, s12, 32
	s_waitcnt_vscnt null, 0x0
	s_cmp_ge_i32 s12, s45
	s_barrier
	buffer_gl0_inv
	s_cbranch_scc1 .LBB19_3
.LBB19_7:                               ;   Parent Loop BB19_4 Depth=1
                                        ; =>  This Loop Header: Depth=2
                                        ;       Child Loop BB19_13 Depth 3
	v_add_nc_u32_e32 v2, s12, v1
	v_mov_b32_e32 v6, 0
	v_mov_b32_e32 v8, 0
	;; [unrolled: 1-line block ×4, first 2 shown]
	v_cndmask_b32_e64 v3, v2, v10, s0
	v_cndmask_b32_e64 v4, v10, v2, s0
	s_mov_b32 s13, exec_lo
	v_cmp_gt_i32_e64 s2, v3, v4
	v_cndmask_b32_e64 v4, v10, v2, s2
	v_cndmask_b32_e64 v5, v2, v10, s2
	v_mov_b32_e32 v2, 0
	v_mov_b32_e32 v3, 0
	v_max_i32_e32 v13, v4, v5
	v_cmpx_gt_i32_e64 s45, v13
	s_cbranch_execz .LBB19_9
; %bb.8:                                ;   in Loop: Header=BB19_7 Depth=2
	v_ashrrev_i32_e32 v8, 31, v5
	v_mul_lo_u32 v9, s19, v5
	v_mad_u64_u32 v[6:7], null, s18, v5, 0
	v_mul_lo_u32 v5, s18, v8
	v_add3_u32 v7, v7, v5, v9
	v_ashrrev_i32_e32 v5, 31, v4
	v_lshlrev_b64 v[6:7], 4, v[6:7]
	v_lshlrev_b64 v[4:5], 4, v[4:5]
	v_add_co_u32 v6, s2, s5, v6
	v_add_co_ci_u32_e64 v7, null, s6, v7, s2
	v_add_co_u32 v4, s2, v6, v4
	v_add_co_ci_u32_e64 v5, null, v7, v5, s2
	global_load_dwordx4 v[6:9], v[4:5], off
.LBB19_9:                               ;   in Loop: Header=BB19_7 Depth=2
	s_or_b32 exec_lo, exec_lo, s13
	v_add_nc_u32_e32 v13, s12, v0
	v_mov_b32_e32 v4, 0
	v_mov_b32_e32 v5, 0
	s_waitcnt vmcnt(0)
	ds_write_b128 v16, v[6:9]
	v_cmp_gt_i32_e64 s2, s45, v13
	s_and_b32 s2, s2, vcc_lo
	s_and_saveexec_b32 s13, s2
	s_cbranch_execz .LBB19_11
; %bb.10:                               ;   in Loop: Header=BB19_7 Depth=2
	v_ashrrev_i32_e32 v14, 31, v13
	v_lshlrev_b64 v[2:3], 4, v[13:14]
	v_add_co_u32 v2, s2, v21, v2
	v_add_co_ci_u32_e64 v3, null, v22, v3, s2
	global_load_dwordx4 v[2:5], v[2:3], off
.LBB19_11:                              ;   in Loop: Header=BB19_7 Depth=2
	s_or_b32 exec_lo, exec_lo, s13
	s_waitcnt vmcnt(0)
	ds_write_b128 v18, v[2:5]
	s_waitcnt lgkmcnt(0)
	s_barrier
	buffer_gl0_inv
	s_and_saveexec_b32 s2, s11
	s_cbranch_execz .LBB19_6
; %bb.12:                               ;   in Loop: Header=BB19_7 Depth=2
	v_mov_b32_e32 v2, 0
	v_mov_b32_e32 v4, 0
	;; [unrolled: 1-line block ×5, first 2 shown]
	s_mov_b32 s13, 0
.LBB19_13:                              ;   Parent Loop BB19_4 Depth=1
                                        ;     Parent Loop BB19_7 Depth=2
                                        ; =>    This Inner Loop Header: Depth=3
	v_add_nc_u32_e32 v9, s13, v15
	s_addk_i32 s13, 0x80
	ds_read_b128 v[23:26], v6
	ds_read_b128 v[27:30], v9
	ds_read_b128 v[31:34], v6 offset:512
	ds_read_b128 v[35:38], v9 offset:16
	;; [unrolled: 1-line block ×3, first 2 shown]
	s_cmpk_eq_i32 s13, 0x200
	s_waitcnt lgkmcnt(3)
	v_mul_f64 v[7:8], v[25:26], v[29:30]
	v_mul_f64 v[13:14], v[23:24], v[29:30]
	s_waitcnt lgkmcnt(1)
	v_mul_f64 v[47:48], v[33:34], v[37:38]
	v_mul_f64 v[37:38], v[31:32], v[37:38]
	v_fma_f64 v[7:8], v[23:24], v[27:28], -v[7:8]
	v_fma_f64 v[13:14], v[25:26], v[27:28], v[13:14]
	ds_read_b128 v[23:26], v9 offset:32
	ds_read_b128 v[27:30], v6 offset:1536
	;; [unrolled: 1-line block ×3, first 2 shown]
	v_fma_f64 v[31:32], v[31:32], v[35:36], -v[47:48]
	v_fma_f64 v[33:34], v[33:34], v[35:36], v[37:38]
	s_waitcnt lgkmcnt(2)
	v_mul_f64 v[49:50], v[41:42], v[25:26]
	v_mul_f64 v[25:26], v[39:40], v[25:26]
	v_add_f64 v[7:8], v[2:3], v[7:8]
	v_add_f64 v[13:14], v[4:5], v[13:14]
	s_waitcnt lgkmcnt(0)
	v_mul_f64 v[47:48], v[29:30], v[45:46]
	v_mul_f64 v[45:46], v[27:28], v[45:46]
	ds_read_b128 v[2:5], v6 offset:2048
	v_fma_f64 v[39:40], v[39:40], v[23:24], -v[49:50]
	v_fma_f64 v[41:42], v[41:42], v[23:24], v[25:26]
	v_add_f64 v[7:8], v[7:8], v[31:32]
	v_add_f64 v[13:14], v[13:14], v[33:34]
	ds_read_b128 v[23:26], v9 offset:64
	ds_read_b128 v[31:34], v6 offset:2560
	;; [unrolled: 1-line block ×3, first 2 shown]
	v_fma_f64 v[47:48], v[27:28], v[43:44], -v[47:48]
	v_fma_f64 v[29:30], v[29:30], v[43:44], v[45:46]
	s_waitcnt lgkmcnt(2)
	v_mul_f64 v[49:50], v[4:5], v[25:26]
	v_mul_f64 v[51:52], v[2:3], v[25:26]
	v_add_f64 v[7:8], v[7:8], v[39:40]
	v_add_f64 v[13:14], v[13:14], v[41:42]
	s_waitcnt lgkmcnt(0)
	v_mul_f64 v[45:46], v[33:34], v[37:38]
	v_mul_f64 v[53:54], v[31:32], v[37:38]
	ds_read_b128 v[25:28], v6 offset:3072
	v_fma_f64 v[49:50], v[2:3], v[23:24], -v[49:50]
	v_fma_f64 v[23:24], v[4:5], v[23:24], v[51:52]
	v_add_f64 v[7:8], v[7:8], v[47:48]
	v_add_f64 v[13:14], v[13:14], v[29:30]
	ds_read_b128 v[2:5], v9 offset:96
	ds_read_b128 v[37:40], v6 offset:3584
	;; [unrolled: 1-line block ×3, first 2 shown]
	v_fma_f64 v[31:32], v[31:32], v[35:36], -v[45:46]
	v_fma_f64 v[33:34], v[33:34], v[35:36], v[53:54]
	v_add_nc_u32_e32 v6, 0x1000, v6
	s_waitcnt lgkmcnt(2)
	v_mul_f64 v[29:30], v[27:28], v[4:5]
	v_mul_f64 v[4:5], v[25:26], v[4:5]
	v_add_f64 v[7:8], v[7:8], v[49:50]
	v_add_f64 v[13:14], v[13:14], v[23:24]
	s_waitcnt lgkmcnt(0)
	v_mul_f64 v[23:24], v[39:40], v[43:44]
	v_mul_f64 v[35:36], v[37:38], v[43:44]
	v_fma_f64 v[25:26], v[25:26], v[2:3], -v[29:30]
	v_fma_f64 v[2:3], v[27:28], v[2:3], v[4:5]
	v_add_f64 v[4:5], v[7:8], v[31:32]
	v_add_f64 v[7:8], v[13:14], v[33:34]
	v_fma_f64 v[13:14], v[37:38], v[41:42], -v[23:24]
	v_fma_f64 v[23:24], v[39:40], v[41:42], v[35:36]
	v_add_f64 v[4:5], v[4:5], v[25:26]
	v_add_f64 v[7:8], v[7:8], v[2:3]
	;; [unrolled: 1-line block ×4, first 2 shown]
	s_cbranch_scc0 .LBB19_13
; %bb.14:                               ;   in Loop: Header=BB19_7 Depth=2
	global_load_dwordx4 v[6:9], v[11:12], off
	v_mul_f64 v[13:14], s[30:31], v[4:5]
	v_mul_f64 v[23:24], s[30:31], v[2:3]
	v_fma_f64 v[2:3], s[28:29], v[2:3], -v[13:14]
	v_fma_f64 v[4:5], s[28:29], v[4:5], v[23:24]
	s_waitcnt vmcnt(0)
	v_add_f64 v[2:3], v[2:3], v[6:7]
	v_add_f64 v[4:5], v[4:5], v[8:9]
	global_store_dwordx4 v[11:12], v[2:5], off
	s_branch .LBB19_6
.LBB19_15:
	s_endpgm
	.section	.rodata,"a",@progbits
	.p2align	6, 0x0
	.amdhsa_kernel _ZL24rocblas_symm_hemm_kernelILb0ELb0ELi32EPK19rocblas_complex_numIdES3_PS1_EvbiiT2_T3_lllS6_lllT4_llli
		.amdhsa_group_segment_fixed_size 32768
		.amdhsa_private_segment_fixed_size 0
		.amdhsa_kernarg_size 384
		.amdhsa_user_sgpr_count 6
		.amdhsa_user_sgpr_private_segment_buffer 1
		.amdhsa_user_sgpr_dispatch_ptr 0
		.amdhsa_user_sgpr_queue_ptr 0
		.amdhsa_user_sgpr_kernarg_segment_ptr 1
		.amdhsa_user_sgpr_dispatch_id 0
		.amdhsa_user_sgpr_flat_scratch_init 0
		.amdhsa_user_sgpr_private_segment_size 0
		.amdhsa_wavefront_size32 1
		.amdhsa_uses_dynamic_stack 0
		.amdhsa_system_sgpr_private_segment_wavefront_offset 0
		.amdhsa_system_sgpr_workgroup_id_x 1
		.amdhsa_system_sgpr_workgroup_id_y 1
		.amdhsa_system_sgpr_workgroup_id_z 1
		.amdhsa_system_sgpr_workgroup_info 0
		.amdhsa_system_vgpr_workitem_id 1
		.amdhsa_next_free_vgpr 55
		.amdhsa_next_free_sgpr 48
		.amdhsa_reserve_vcc 1
		.amdhsa_reserve_flat_scratch 0
		.amdhsa_float_round_mode_32 0
		.amdhsa_float_round_mode_16_64 0
		.amdhsa_float_denorm_mode_32 3
		.amdhsa_float_denorm_mode_16_64 3
		.amdhsa_dx10_clamp 1
		.amdhsa_ieee_mode 1
		.amdhsa_fp16_overflow 0
		.amdhsa_workgroup_processor_mode 1
		.amdhsa_memory_ordered 1
		.amdhsa_forward_progress 1
		.amdhsa_shared_vgpr_count 0
		.amdhsa_exception_fp_ieee_invalid_op 0
		.amdhsa_exception_fp_denorm_src 0
		.amdhsa_exception_fp_ieee_div_zero 0
		.amdhsa_exception_fp_ieee_overflow 0
		.amdhsa_exception_fp_ieee_underflow 0
		.amdhsa_exception_fp_ieee_inexact 0
		.amdhsa_exception_int_div_zero 0
	.end_amdhsa_kernel
	.section	.text._ZL24rocblas_symm_hemm_kernelILb0ELb0ELi32EPK19rocblas_complex_numIdES3_PS1_EvbiiT2_T3_lllS6_lllT4_llli,"axG",@progbits,_ZL24rocblas_symm_hemm_kernelILb0ELb0ELi32EPK19rocblas_complex_numIdES3_PS1_EvbiiT2_T3_lllS6_lllT4_llli,comdat
.Lfunc_end19:
	.size	_ZL24rocblas_symm_hemm_kernelILb0ELb0ELi32EPK19rocblas_complex_numIdES3_PS1_EvbiiT2_T3_lllS6_lllT4_llli, .Lfunc_end19-_ZL24rocblas_symm_hemm_kernelILb0ELb0ELi32EPK19rocblas_complex_numIdES3_PS1_EvbiiT2_T3_lllS6_lllT4_llli
                                        ; -- End function
	.set _ZL24rocblas_symm_hemm_kernelILb0ELb0ELi32EPK19rocblas_complex_numIdES3_PS1_EvbiiT2_T3_lllS6_lllT4_llli.num_vgpr, 55
	.set _ZL24rocblas_symm_hemm_kernelILb0ELb0ELi32EPK19rocblas_complex_numIdES3_PS1_EvbiiT2_T3_lllS6_lllT4_llli.num_agpr, 0
	.set _ZL24rocblas_symm_hemm_kernelILb0ELb0ELi32EPK19rocblas_complex_numIdES3_PS1_EvbiiT2_T3_lllS6_lllT4_llli.numbered_sgpr, 48
	.set _ZL24rocblas_symm_hemm_kernelILb0ELb0ELi32EPK19rocblas_complex_numIdES3_PS1_EvbiiT2_T3_lllS6_lllT4_llli.num_named_barrier, 0
	.set _ZL24rocblas_symm_hemm_kernelILb0ELb0ELi32EPK19rocblas_complex_numIdES3_PS1_EvbiiT2_T3_lllS6_lllT4_llli.private_seg_size, 0
	.set _ZL24rocblas_symm_hemm_kernelILb0ELb0ELi32EPK19rocblas_complex_numIdES3_PS1_EvbiiT2_T3_lllS6_lllT4_llli.uses_vcc, 1
	.set _ZL24rocblas_symm_hemm_kernelILb0ELb0ELi32EPK19rocblas_complex_numIdES3_PS1_EvbiiT2_T3_lllS6_lllT4_llli.uses_flat_scratch, 0
	.set _ZL24rocblas_symm_hemm_kernelILb0ELb0ELi32EPK19rocblas_complex_numIdES3_PS1_EvbiiT2_T3_lllS6_lllT4_llli.has_dyn_sized_stack, 0
	.set _ZL24rocblas_symm_hemm_kernelILb0ELb0ELi32EPK19rocblas_complex_numIdES3_PS1_EvbiiT2_T3_lllS6_lllT4_llli.has_recursion, 0
	.set _ZL24rocblas_symm_hemm_kernelILb0ELb0ELi32EPK19rocblas_complex_numIdES3_PS1_EvbiiT2_T3_lllS6_lllT4_llli.has_indirect_call, 0
	.section	.AMDGPU.csdata,"",@progbits
; Kernel info:
; codeLenInByte = 1500
; TotalNumSgprs: 50
; NumVgprs: 55
; ScratchSize: 0
; MemoryBound: 1
; FloatMode: 240
; IeeeMode: 1
; LDSByteSize: 32768 bytes/workgroup (compile time only)
; SGPRBlocks: 0
; VGPRBlocks: 6
; NumSGPRsForWavesPerEU: 50
; NumVGPRsForWavesPerEU: 55
; Occupancy: 16
; WaveLimiterHint : 0
; COMPUTE_PGM_RSRC2:SCRATCH_EN: 0
; COMPUTE_PGM_RSRC2:USER_SGPR: 6
; COMPUTE_PGM_RSRC2:TRAP_HANDLER: 0
; COMPUTE_PGM_RSRC2:TGID_X_EN: 1
; COMPUTE_PGM_RSRC2:TGID_Y_EN: 1
; COMPUTE_PGM_RSRC2:TGID_Z_EN: 1
; COMPUTE_PGM_RSRC2:TIDIG_COMP_CNT: 1
	.section	.text._ZL24rocblas_symm_hemm_kernelILb0ELb1ELi32EPK19rocblas_complex_numIdES3_PS1_EvbiiT2_T3_lllS6_lllT4_llli,"axG",@progbits,_ZL24rocblas_symm_hemm_kernelILb0ELb1ELi32EPK19rocblas_complex_numIdES3_PS1_EvbiiT2_T3_lllS6_lllT4_llli,comdat
	.globl	_ZL24rocblas_symm_hemm_kernelILb0ELb1ELi32EPK19rocblas_complex_numIdES3_PS1_EvbiiT2_T3_lllS6_lllT4_llli ; -- Begin function _ZL24rocblas_symm_hemm_kernelILb0ELb1ELi32EPK19rocblas_complex_numIdES3_PS1_EvbiiT2_T3_lllS6_lllT4_llli
	.p2align	8
	.type	_ZL24rocblas_symm_hemm_kernelILb0ELb1ELi32EPK19rocblas_complex_numIdES3_PS1_EvbiiT2_T3_lllS6_lllT4_llli,@function
_ZL24rocblas_symm_hemm_kernelILb0ELb1ELi32EPK19rocblas_complex_numIdES3_PS1_EvbiiT2_T3_lllS6_lllT4_llli: ; @_ZL24rocblas_symm_hemm_kernelILb0ELb1ELi32EPK19rocblas_complex_numIdES3_PS1_EvbiiT2_T3_lllS6_lllT4_llli
; %bb.0:
	s_load_dwordx16 s[12:27], s[4:5], 0x10
	s_waitcnt lgkmcnt(0)
	s_load_dwordx4 s[28:31], s[12:13], 0x0
	s_waitcnt lgkmcnt(0)
	v_cmp_eq_f64_e64 s0, s[28:29], 0
	v_cmp_eq_f64_e64 s1, s[30:31], 0
	s_and_b32 s0, s0, s1
	s_and_b32 vcc_lo, exec_lo, s0
	s_cbranch_vccnz .LBB20_15
; %bb.1:
	s_load_dwordx4 s[44:47], s[4:5], 0x0
	s_waitcnt lgkmcnt(0)
	s_add_i32 s0, s46, -1
	s_ashr_i32 s1, s0, 31
	s_lshr_b32 s1, s1, 27
	s_add_i32 s0, s0, s1
	s_ashr_i32 s3, s0, 5
	s_cmp_gt_i32 s7, s3
	s_cbranch_scc1 .LBB20_15
; %bb.2:
	s_clause 0x1
	s_load_dwordx2 s[10:11], s[4:5], 0x70
	s_load_dwordx8 s[36:43], s[4:5], 0x50
	s_mul_i32 s1, s21, s8
	s_mul_hi_u32 s2, s20, s8
	s_mul_i32 s0, s20, s8
	s_add_i32 s1, s2, s1
	v_lshl_add_u32 v2, s6, 5, v0
	s_lshl_b64 s[0:1], s[0:1], 4
	s_load_dword s4, s[4:5], 0x84
	s_add_u32 s2, s14, s0
	s_addc_u32 s9, s15, s1
	s_lshl_b64 s[0:1], s[16:17], 4
	v_ashrrev_i32_e32 v3, 31, v2
	s_add_u32 s6, s2, s0
	s_addc_u32 s9, s9, s1
	s_bitcmp1_b32 s44, 0
	v_lshlrev_b32_e32 v5, 4, v1
	s_cselect_b32 s0, -1, 0
	v_lshlrev_b64 v[3:4], 4, v[2:3]
	v_lshlrev_b32_e32 v14, 9, v0
	s_waitcnt lgkmcnt(0)
	s_mul_i32 s1, s11, s8
	s_mul_hi_u32 s2, s10, s8
	s_mul_i32 s10, s10, s8
	s_add_i32 s11, s2, s1
	s_mul_i32 s1, s37, s8
	s_lshl_b64 s[10:11], s[10:11], 4
	s_mul_hi_u32 s2, s36, s8
	s_add_u32 s5, s38, s10
	s_addc_u32 s13, s39, s11
	s_lshl_b64 s[10:11], s[40:41], 4
	s_mul_i32 s12, s36, s8
	s_add_u32 s5, s5, s10
	s_addc_u32 s8, s13, s11
	s_add_i32 s13, s2, s1
	v_or_b32_e32 v15, 0x4000, v5
	s_lshl_b64 s[10:11], s[12:13], 4
	v_add_nc_u32_e32 v18, v14, v5
	s_add_u32 s1, s22, s10
	s_addc_u32 s2, s23, s11
	s_lshl_b64 s[10:11], s[24:25], 4
	v_add_nc_u32_e32 v19, v15, v14
	s_add_u32 s10, s1, s10
	s_addc_u32 s2, s2, s11
	v_add_co_u32 v16, vcc_lo, s10, v3
	v_add_co_ci_u32_e64 v17, null, s2, v4, vcc_lo
	v_add_co_u32 v20, vcc_lo, s5, v3
	v_cmp_gt_i32_e64 s1, s45, v2
	v_add_co_ci_u32_e64 v21, null, s8, v4, vcc_lo
	s_cmp_gt_i32 s46, 0
	s_cselect_b32 s5, -1, 0
	s_branch .LBB20_4
.LBB20_3:                               ;   in Loop: Header=BB20_4 Depth=1
	s_add_i32 s7, s7, s4
	s_cmp_gt_i32 s7, s3
	s_cbranch_scc1 .LBB20_15
.LBB20_4:                               ; =>This Loop Header: Depth=1
                                        ;     Child Loop BB20_7 Depth 2
                                        ;       Child Loop BB20_13 Depth 3
	s_andn2_b32 vcc_lo, exec_lo, s5
	s_cbranch_vccnz .LBB20_3
; %bb.5:                                ;   in Loop: Header=BB20_4 Depth=1
	v_lshl_add_u32 v22, s7, 5, v1
	s_mov_b32 s8, 0
	v_ashrrev_i32_e32 v4, 31, v22
	v_mul_lo_u32 v5, s43, v22
	v_mad_u64_u32 v[2:3], null, s42, v22, 0
	v_cmp_gt_i32_e32 vcc_lo, s46, v22
	v_mul_lo_u32 v4, s42, v4
	v_add3_u32 v3, v3, v4, v5
	v_lshlrev_b64 v[2:3], 4, v[2:3]
	v_add_co_u32 v10, s2, v20, v2
	v_add_co_ci_u32_e64 v11, null, v21, v3, s2
	s_and_b32 s2, s1, vcc_lo
	s_branch .LBB20_7
.LBB20_6:                               ;   in Loop: Header=BB20_7 Depth=2
	s_or_b32 exec_lo, exec_lo, s10
	s_add_i32 s8, s8, 32
	s_waitcnt_vscnt null, 0x0
	s_cmp_ge_i32 s8, s46
	s_barrier
	buffer_gl0_inv
	s_cbranch_scc1 .LBB20_3
.LBB20_7:                               ;   Parent Loop BB20_4 Depth=1
                                        ; =>  This Loop Header: Depth=2
                                        ;       Child Loop BB20_13 Depth 3
	v_add_nc_u32_e32 v4, s8, v1
	v_mov_b32_e32 v2, 0
	v_mov_b32_e32 v6, 0
	;; [unrolled: 1-line block ×4, first 2 shown]
	v_cmp_gt_i32_e32 vcc_lo, s46, v4
	v_mov_b32_e32 v7, 0
	v_mov_b32_e32 v9, 0
	s_and_b32 s11, s1, vcc_lo
	s_and_saveexec_b32 s10, s11
	s_cbranch_execz .LBB20_9
; %bb.8:                                ;   in Loop: Header=BB20_7 Depth=2
	v_ashrrev_i32_e32 v6, 31, v4
	v_mul_lo_u32 v7, s27, v4
	v_mad_u64_u32 v[4:5], null, s26, v4, 0
	v_mul_lo_u32 v6, s26, v6
	v_add3_u32 v5, v5, v6, v7
	v_lshlrev_b64 v[4:5], 4, v[4:5]
	v_add_co_u32 v4, vcc_lo, v16, v4
	v_add_co_ci_u32_e64 v5, null, v17, v5, vcc_lo
	global_load_dwordx4 v[6:9], v[4:5], off
.LBB20_9:                               ;   in Loop: Header=BB20_7 Depth=2
	s_or_b32 exec_lo, exec_lo, s10
	v_add_nc_u32_e32 v4, s8, v0
	s_mov_b32 s10, exec_lo
	s_waitcnt vmcnt(0)
	ds_write_b128 v18, v[6:9]
	v_cndmask_b32_e64 v5, v22, v4, s0
	v_cndmask_b32_e64 v12, v4, v22, s0
	v_cmp_gt_i32_e32 vcc_lo, v5, v12
	v_cndmask_b32_e32 v12, v4, v22, vcc_lo
	v_cndmask_b32_e32 v13, v22, v4, vcc_lo
	v_mov_b32_e32 v4, 0
	v_mov_b32_e32 v5, 0
	v_max_i32_e32 v23, v12, v13
	v_cmpx_gt_i32_e64 s46, v23
	s_cbranch_execz .LBB20_11
; %bb.10:                               ;   in Loop: Header=BB20_7 Depth=2
	v_ashrrev_i32_e32 v4, 31, v13
	v_mul_lo_u32 v5, s19, v13
	v_mad_u64_u32 v[2:3], null, s18, v13, 0
	v_ashrrev_i32_e32 v13, 31, v12
	v_mul_lo_u32 v4, s18, v4
	v_add3_u32 v3, v3, v4, v5
	v_lshlrev_b64 v[4:5], 4, v[12:13]
	v_lshlrev_b64 v[2:3], 4, v[2:3]
	v_add_co_u32 v2, vcc_lo, s6, v2
	v_add_co_ci_u32_e64 v3, null, s9, v3, vcc_lo
	v_add_co_u32 v2, vcc_lo, v2, v4
	v_add_co_ci_u32_e64 v3, null, v3, v5, vcc_lo
	global_load_dwordx4 v[2:5], v[2:3], off
.LBB20_11:                              ;   in Loop: Header=BB20_7 Depth=2
	s_or_b32 exec_lo, exec_lo, s10
	s_waitcnt vmcnt(0)
	ds_write_b128 v19, v[2:5]
	s_waitcnt lgkmcnt(0)
	s_barrier
	buffer_gl0_inv
	s_and_saveexec_b32 s10, s2
	s_cbranch_execz .LBB20_6
; %bb.12:                               ;   in Loop: Header=BB20_7 Depth=2
	v_mov_b32_e32 v2, 0
	v_mov_b32_e32 v4, 0
	;; [unrolled: 1-line block ×5, first 2 shown]
	s_mov_b32 s11, 0
.LBB20_13:                              ;   Parent Loop BB20_4 Depth=1
                                        ;     Parent Loop BB20_7 Depth=2
                                        ; =>    This Inner Loop Header: Depth=3
	v_add_nc_u32_e32 v9, s11, v14
	s_addk_i32 s11, 0x80
	ds_read_b128 v[23:26], v6
	ds_read_b128 v[27:30], v9
	ds_read_b128 v[31:34], v6 offset:512
	ds_read_b128 v[35:38], v9 offset:16
	;; [unrolled: 1-line block ×3, first 2 shown]
	s_cmpk_eq_i32 s11, 0x200
	s_waitcnt lgkmcnt(3)
	v_mul_f64 v[7:8], v[25:26], v[29:30]
	v_mul_f64 v[12:13], v[23:24], v[29:30]
	s_waitcnt lgkmcnt(1)
	v_mul_f64 v[47:48], v[33:34], v[37:38]
	v_mul_f64 v[37:38], v[31:32], v[37:38]
	v_fma_f64 v[7:8], v[23:24], v[27:28], -v[7:8]
	v_fma_f64 v[12:13], v[25:26], v[27:28], v[12:13]
	ds_read_b128 v[23:26], v9 offset:32
	ds_read_b128 v[27:30], v6 offset:1536
	ds_read_b128 v[43:46], v9 offset:48
	v_fma_f64 v[31:32], v[31:32], v[35:36], -v[47:48]
	v_fma_f64 v[33:34], v[33:34], v[35:36], v[37:38]
	s_waitcnt lgkmcnt(2)
	v_mul_f64 v[49:50], v[41:42], v[25:26]
	v_mul_f64 v[25:26], v[39:40], v[25:26]
	v_add_f64 v[7:8], v[2:3], v[7:8]
	v_add_f64 v[12:13], v[4:5], v[12:13]
	s_waitcnt lgkmcnt(0)
	v_mul_f64 v[47:48], v[29:30], v[45:46]
	v_mul_f64 v[45:46], v[27:28], v[45:46]
	ds_read_b128 v[2:5], v6 offset:2048
	v_fma_f64 v[39:40], v[39:40], v[23:24], -v[49:50]
	v_fma_f64 v[41:42], v[41:42], v[23:24], v[25:26]
	v_add_f64 v[7:8], v[7:8], v[31:32]
	v_add_f64 v[12:13], v[12:13], v[33:34]
	ds_read_b128 v[23:26], v9 offset:64
	ds_read_b128 v[31:34], v6 offset:2560
	ds_read_b128 v[35:38], v9 offset:80
	v_fma_f64 v[47:48], v[27:28], v[43:44], -v[47:48]
	v_fma_f64 v[29:30], v[29:30], v[43:44], v[45:46]
	s_waitcnt lgkmcnt(2)
	v_mul_f64 v[49:50], v[4:5], v[25:26]
	v_mul_f64 v[51:52], v[2:3], v[25:26]
	v_add_f64 v[7:8], v[7:8], v[39:40]
	v_add_f64 v[12:13], v[12:13], v[41:42]
	s_waitcnt lgkmcnt(0)
	v_mul_f64 v[45:46], v[33:34], v[37:38]
	v_mul_f64 v[53:54], v[31:32], v[37:38]
	ds_read_b128 v[25:28], v6 offset:3072
	v_fma_f64 v[49:50], v[2:3], v[23:24], -v[49:50]
	v_fma_f64 v[23:24], v[4:5], v[23:24], v[51:52]
	v_add_f64 v[7:8], v[7:8], v[47:48]
	v_add_f64 v[12:13], v[12:13], v[29:30]
	ds_read_b128 v[2:5], v9 offset:96
	ds_read_b128 v[37:40], v6 offset:3584
	;; [unrolled: 1-line block ×3, first 2 shown]
	v_fma_f64 v[31:32], v[31:32], v[35:36], -v[45:46]
	v_fma_f64 v[33:34], v[33:34], v[35:36], v[53:54]
	v_add_nc_u32_e32 v6, 0x1000, v6
	s_waitcnt lgkmcnt(2)
	v_mul_f64 v[29:30], v[27:28], v[4:5]
	v_mul_f64 v[4:5], v[25:26], v[4:5]
	v_add_f64 v[7:8], v[7:8], v[49:50]
	v_add_f64 v[12:13], v[12:13], v[23:24]
	s_waitcnt lgkmcnt(0)
	v_mul_f64 v[23:24], v[39:40], v[43:44]
	v_mul_f64 v[35:36], v[37:38], v[43:44]
	v_fma_f64 v[25:26], v[25:26], v[2:3], -v[29:30]
	v_fma_f64 v[2:3], v[27:28], v[2:3], v[4:5]
	v_add_f64 v[4:5], v[7:8], v[31:32]
	v_add_f64 v[7:8], v[12:13], v[33:34]
	v_fma_f64 v[12:13], v[37:38], v[41:42], -v[23:24]
	v_fma_f64 v[23:24], v[39:40], v[41:42], v[35:36]
	v_add_f64 v[4:5], v[4:5], v[25:26]
	v_add_f64 v[7:8], v[7:8], v[2:3]
	;; [unrolled: 1-line block ×4, first 2 shown]
	s_cbranch_scc0 .LBB20_13
; %bb.14:                               ;   in Loop: Header=BB20_7 Depth=2
	global_load_dwordx4 v[6:9], v[10:11], off
	v_mul_f64 v[12:13], s[30:31], v[4:5]
	v_mul_f64 v[23:24], s[30:31], v[2:3]
	v_fma_f64 v[2:3], s[28:29], v[2:3], -v[12:13]
	v_fma_f64 v[4:5], s[28:29], v[4:5], v[23:24]
	s_waitcnt vmcnt(0)
	v_add_f64 v[2:3], v[2:3], v[6:7]
	v_add_f64 v[4:5], v[4:5], v[8:9]
	global_store_dwordx4 v[10:11], v[2:5], off
	s_branch .LBB20_6
.LBB20_15:
	s_endpgm
	.section	.rodata,"a",@progbits
	.p2align	6, 0x0
	.amdhsa_kernel _ZL24rocblas_symm_hemm_kernelILb0ELb1ELi32EPK19rocblas_complex_numIdES3_PS1_EvbiiT2_T3_lllS6_lllT4_llli
		.amdhsa_group_segment_fixed_size 32768
		.amdhsa_private_segment_fixed_size 0
		.amdhsa_kernarg_size 384
		.amdhsa_user_sgpr_count 6
		.amdhsa_user_sgpr_private_segment_buffer 1
		.amdhsa_user_sgpr_dispatch_ptr 0
		.amdhsa_user_sgpr_queue_ptr 0
		.amdhsa_user_sgpr_kernarg_segment_ptr 1
		.amdhsa_user_sgpr_dispatch_id 0
		.amdhsa_user_sgpr_flat_scratch_init 0
		.amdhsa_user_sgpr_private_segment_size 0
		.amdhsa_wavefront_size32 1
		.amdhsa_uses_dynamic_stack 0
		.amdhsa_system_sgpr_private_segment_wavefront_offset 0
		.amdhsa_system_sgpr_workgroup_id_x 1
		.amdhsa_system_sgpr_workgroup_id_y 1
		.amdhsa_system_sgpr_workgroup_id_z 1
		.amdhsa_system_sgpr_workgroup_info 0
		.amdhsa_system_vgpr_workitem_id 1
		.amdhsa_next_free_vgpr 55
		.amdhsa_next_free_sgpr 48
		.amdhsa_reserve_vcc 1
		.amdhsa_reserve_flat_scratch 0
		.amdhsa_float_round_mode_32 0
		.amdhsa_float_round_mode_16_64 0
		.amdhsa_float_denorm_mode_32 3
		.amdhsa_float_denorm_mode_16_64 3
		.amdhsa_dx10_clamp 1
		.amdhsa_ieee_mode 1
		.amdhsa_fp16_overflow 0
		.amdhsa_workgroup_processor_mode 1
		.amdhsa_memory_ordered 1
		.amdhsa_forward_progress 1
		.amdhsa_shared_vgpr_count 0
		.amdhsa_exception_fp_ieee_invalid_op 0
		.amdhsa_exception_fp_denorm_src 0
		.amdhsa_exception_fp_ieee_div_zero 0
		.amdhsa_exception_fp_ieee_overflow 0
		.amdhsa_exception_fp_ieee_underflow 0
		.amdhsa_exception_fp_ieee_inexact 0
		.amdhsa_exception_int_div_zero 0
	.end_amdhsa_kernel
	.section	.text._ZL24rocblas_symm_hemm_kernelILb0ELb1ELi32EPK19rocblas_complex_numIdES3_PS1_EvbiiT2_T3_lllS6_lllT4_llli,"axG",@progbits,_ZL24rocblas_symm_hemm_kernelILb0ELb1ELi32EPK19rocblas_complex_numIdES3_PS1_EvbiiT2_T3_lllS6_lllT4_llli,comdat
.Lfunc_end20:
	.size	_ZL24rocblas_symm_hemm_kernelILb0ELb1ELi32EPK19rocblas_complex_numIdES3_PS1_EvbiiT2_T3_lllS6_lllT4_llli, .Lfunc_end20-_ZL24rocblas_symm_hemm_kernelILb0ELb1ELi32EPK19rocblas_complex_numIdES3_PS1_EvbiiT2_T3_lllS6_lllT4_llli
                                        ; -- End function
	.set _ZL24rocblas_symm_hemm_kernelILb0ELb1ELi32EPK19rocblas_complex_numIdES3_PS1_EvbiiT2_T3_lllS6_lllT4_llli.num_vgpr, 55
	.set _ZL24rocblas_symm_hemm_kernelILb0ELb1ELi32EPK19rocblas_complex_numIdES3_PS1_EvbiiT2_T3_lllS6_lllT4_llli.num_agpr, 0
	.set _ZL24rocblas_symm_hemm_kernelILb0ELb1ELi32EPK19rocblas_complex_numIdES3_PS1_EvbiiT2_T3_lllS6_lllT4_llli.numbered_sgpr, 48
	.set _ZL24rocblas_symm_hemm_kernelILb0ELb1ELi32EPK19rocblas_complex_numIdES3_PS1_EvbiiT2_T3_lllS6_lllT4_llli.num_named_barrier, 0
	.set _ZL24rocblas_symm_hemm_kernelILb0ELb1ELi32EPK19rocblas_complex_numIdES3_PS1_EvbiiT2_T3_lllS6_lllT4_llli.private_seg_size, 0
	.set _ZL24rocblas_symm_hemm_kernelILb0ELb1ELi32EPK19rocblas_complex_numIdES3_PS1_EvbiiT2_T3_lllS6_lllT4_llli.uses_vcc, 1
	.set _ZL24rocblas_symm_hemm_kernelILb0ELb1ELi32EPK19rocblas_complex_numIdES3_PS1_EvbiiT2_T3_lllS6_lllT4_llli.uses_flat_scratch, 0
	.set _ZL24rocblas_symm_hemm_kernelILb0ELb1ELi32EPK19rocblas_complex_numIdES3_PS1_EvbiiT2_T3_lllS6_lllT4_llli.has_dyn_sized_stack, 0
	.set _ZL24rocblas_symm_hemm_kernelILb0ELb1ELi32EPK19rocblas_complex_numIdES3_PS1_EvbiiT2_T3_lllS6_lllT4_llli.has_recursion, 0
	.set _ZL24rocblas_symm_hemm_kernelILb0ELb1ELi32EPK19rocblas_complex_numIdES3_PS1_EvbiiT2_T3_lllS6_lllT4_llli.has_indirect_call, 0
	.section	.AMDGPU.csdata,"",@progbits
; Kernel info:
; codeLenInByte = 1476
; TotalNumSgprs: 50
; NumVgprs: 55
; ScratchSize: 0
; MemoryBound: 1
; FloatMode: 240
; IeeeMode: 1
; LDSByteSize: 32768 bytes/workgroup (compile time only)
; SGPRBlocks: 0
; VGPRBlocks: 6
; NumSGPRsForWavesPerEU: 50
; NumVGPRsForWavesPerEU: 55
; Occupancy: 16
; WaveLimiterHint : 0
; COMPUTE_PGM_RSRC2:SCRATCH_EN: 0
; COMPUTE_PGM_RSRC2:USER_SGPR: 6
; COMPUTE_PGM_RSRC2:TRAP_HANDLER: 0
; COMPUTE_PGM_RSRC2:TGID_X_EN: 1
; COMPUTE_PGM_RSRC2:TGID_Y_EN: 1
; COMPUTE_PGM_RSRC2:TGID_Z_EN: 1
; COMPUTE_PGM_RSRC2:TIDIG_COMP_CNT: 1
	.section	.text._ZL25rocblas_symm_scale_kernelILi128ELi8E19rocblas_complex_numIdEPS1_EviiT1_T2_llli,"axG",@progbits,_ZL25rocblas_symm_scale_kernelILi128ELi8E19rocblas_complex_numIdEPS1_EviiT1_T2_llli,comdat
	.globl	_ZL25rocblas_symm_scale_kernelILi128ELi8E19rocblas_complex_numIdEPS1_EviiT1_T2_llli ; -- Begin function _ZL25rocblas_symm_scale_kernelILi128ELi8E19rocblas_complex_numIdEPS1_EviiT1_T2_llli
	.p2align	8
	.type	_ZL25rocblas_symm_scale_kernelILi128ELi8E19rocblas_complex_numIdEPS1_EviiT1_T2_llli,@function
_ZL25rocblas_symm_scale_kernelILi128ELi8E19rocblas_complex_numIdEPS1_EviiT1_T2_llli: ; @_ZL25rocblas_symm_scale_kernelILi128ELi8E19rocblas_complex_numIdEPS1_EviiT1_T2_llli
; %bb.0:
	s_load_dwordx8 s[12:19], s[4:5], 0x8
	s_waitcnt lgkmcnt(0)
	v_cmp_eq_f64_e64 s0, s[12:13], 1.0
	v_cmp_eq_f64_e64 s1, s[14:15], 0
	s_and_b32 s0, s0, s1
	s_and_b32 vcc_lo, exec_lo, s0
	s_cbranch_vccnz .LBB21_6
; %bb.1:
	s_load_dwordx2 s[0:1], s[4:5], 0x0
	v_lshl_add_u32 v4, s7, 3, v1
	v_mov_b32_e32 v5, 0
	v_lshl_add_u32 v0, s6, 7, v0
	s_waitcnt lgkmcnt(0)
	s_ashr_i32 s7, s1, 31
	s_mov_b32 s6, s1
	v_cmp_gt_u32_e64 s0, s0, v0
	v_cmp_gt_i64_e32 vcc_lo, s[6:7], v[4:5]
	s_and_b32 s0, s0, vcc_lo
	s_and_saveexec_b32 s1, s0
	s_cbranch_execz .LBB21_6
; %bb.2:
	s_clause 0x1
	s_load_dwordx4 s[0:3], s[4:5], 0x28
	s_load_dword s4, s[4:5], 0x44
	v_cmp_neq_f64_e64 s5, s[12:13], 0
	v_cmp_neq_f64_e64 s9, s[14:15], 0
	s_lshl_b64 s[10:11], s[18:19], 4
	s_waitcnt lgkmcnt(0)
	v_mad_u64_u32 v[2:3], null, s0, v4, 0
	s_mul_i32 s3, s3, s8
	s_mul_hi_u32 s18, s2, s8
	s_mul_i32 s2, s2, s8
	s_add_i32 s3, s18, s3
	s_lshl_b32 s4, s4, 3
	s_lshl_b64 s[2:3], s[2:3], 4
	v_mov_b32_e32 v1, v3
	s_or_b32 s5, s5, s9
	s_add_u32 s2, s10, s2
	s_addc_u32 s3, s11, s3
	v_mad_u64_u32 v[6:7], null, s1, v4, v[1:2]
	v_mov_b32_e32 v1, v5
	s_mul_i32 s1, s1, s4
	v_lshlrev_b64 v[0:1], 4, v[0:1]
	v_mov_b32_e32 v3, v6
	v_lshlrev_b64 v[2:3], 4, v[2:3]
	v_add_co_u32 v2, vcc_lo, s2, v2
	v_add_co_ci_u32_e64 v3, null, s3, v3, vcc_lo
	s_mul_hi_u32 s2, s0, s4
	v_add_co_u32 v0, vcc_lo, v2, v0
	v_add_co_ci_u32_e64 v1, null, v3, v1, vcc_lo
	s_add_i32 s3, s2, s1
	v_add_co_u32 v0, vcc_lo, s16, v0
	v_add_co_ci_u32_e64 v1, null, s17, v1, vcc_lo
	s_mul_i32 s2, s0, s4
	v_add_co_u32 v6, vcc_lo, v0, 8
	v_add_co_ci_u32_e64 v7, null, 0, v1, vcc_lo
	s_mov_b32 s1, 0
	s_lshl_b64 s[2:3], s[2:3], 4
	s_inst_prefetch 0x1
	s_branch .LBB21_4
	.p2align	6
.LBB21_3:                               ;   in Loop: Header=BB21_4 Depth=1
	v_add_co_u32 v4, vcc_lo, v4, s4
	v_add_co_ci_u32_e64 v5, null, 0, v5, vcc_lo
	global_store_dwordx4 v[6:7], v[0:3], off offset:-8
	v_add_co_u32 v6, s0, v6, s2
	v_cmp_le_i64_e32 vcc_lo, s[6:7], v[4:5]
	v_add_co_ci_u32_e64 v7, null, s3, v7, s0
	s_or_b32 s1, vcc_lo, s1
	s_andn2_b32 exec_lo, exec_lo, s1
	s_cbranch_execz .LBB21_6
.LBB21_4:                               ; =>This Inner Loop Header: Depth=1
	v_mov_b32_e32 v2, 0
	v_mov_b32_e32 v0, 0
	;; [unrolled: 1-line block ×4, first 2 shown]
	s_andn2_b32 vcc_lo, exec_lo, s5
	s_cbranch_vccnz .LBB21_3
; %bb.5:                                ;   in Loop: Header=BB21_4 Depth=1
	global_load_dwordx4 v[8:11], v[6:7], off offset:-8
	s_waitcnt vmcnt(0)
	v_mul_f64 v[0:1], s[14:15], v[10:11]
	v_mul_f64 v[2:3], s[12:13], v[10:11]
	v_fma_f64 v[0:1], s[12:13], v[8:9], -v[0:1]
	v_fma_f64 v[2:3], s[14:15], v[8:9], v[2:3]
	s_branch .LBB21_3
.LBB21_6:
	s_inst_prefetch 0x2
	s_endpgm
	.section	.rodata,"a",@progbits
	.p2align	6, 0x0
	.amdhsa_kernel _ZL25rocblas_symm_scale_kernelILi128ELi8E19rocblas_complex_numIdEPS1_EviiT1_T2_llli
		.amdhsa_group_segment_fixed_size 0
		.amdhsa_private_segment_fixed_size 0
		.amdhsa_kernarg_size 320
		.amdhsa_user_sgpr_count 6
		.amdhsa_user_sgpr_private_segment_buffer 1
		.amdhsa_user_sgpr_dispatch_ptr 0
		.amdhsa_user_sgpr_queue_ptr 0
		.amdhsa_user_sgpr_kernarg_segment_ptr 1
		.amdhsa_user_sgpr_dispatch_id 0
		.amdhsa_user_sgpr_flat_scratch_init 0
		.amdhsa_user_sgpr_private_segment_size 0
		.amdhsa_wavefront_size32 1
		.amdhsa_uses_dynamic_stack 0
		.amdhsa_system_sgpr_private_segment_wavefront_offset 0
		.amdhsa_system_sgpr_workgroup_id_x 1
		.amdhsa_system_sgpr_workgroup_id_y 1
		.amdhsa_system_sgpr_workgroup_id_z 1
		.amdhsa_system_sgpr_workgroup_info 0
		.amdhsa_system_vgpr_workitem_id 1
		.amdhsa_next_free_vgpr 12
		.amdhsa_next_free_sgpr 20
		.amdhsa_reserve_vcc 1
		.amdhsa_reserve_flat_scratch 0
		.amdhsa_float_round_mode_32 0
		.amdhsa_float_round_mode_16_64 0
		.amdhsa_float_denorm_mode_32 3
		.amdhsa_float_denorm_mode_16_64 3
		.amdhsa_dx10_clamp 1
		.amdhsa_ieee_mode 1
		.amdhsa_fp16_overflow 0
		.amdhsa_workgroup_processor_mode 1
		.amdhsa_memory_ordered 1
		.amdhsa_forward_progress 1
		.amdhsa_shared_vgpr_count 0
		.amdhsa_exception_fp_ieee_invalid_op 0
		.amdhsa_exception_fp_denorm_src 0
		.amdhsa_exception_fp_ieee_div_zero 0
		.amdhsa_exception_fp_ieee_overflow 0
		.amdhsa_exception_fp_ieee_underflow 0
		.amdhsa_exception_fp_ieee_inexact 0
		.amdhsa_exception_int_div_zero 0
	.end_amdhsa_kernel
	.section	.text._ZL25rocblas_symm_scale_kernelILi128ELi8E19rocblas_complex_numIdEPS1_EviiT1_T2_llli,"axG",@progbits,_ZL25rocblas_symm_scale_kernelILi128ELi8E19rocblas_complex_numIdEPS1_EviiT1_T2_llli,comdat
.Lfunc_end21:
	.size	_ZL25rocblas_symm_scale_kernelILi128ELi8E19rocblas_complex_numIdEPS1_EviiT1_T2_llli, .Lfunc_end21-_ZL25rocblas_symm_scale_kernelILi128ELi8E19rocblas_complex_numIdEPS1_EviiT1_T2_llli
                                        ; -- End function
	.set _ZL25rocblas_symm_scale_kernelILi128ELi8E19rocblas_complex_numIdEPS1_EviiT1_T2_llli.num_vgpr, 12
	.set _ZL25rocblas_symm_scale_kernelILi128ELi8E19rocblas_complex_numIdEPS1_EviiT1_T2_llli.num_agpr, 0
	.set _ZL25rocblas_symm_scale_kernelILi128ELi8E19rocblas_complex_numIdEPS1_EviiT1_T2_llli.numbered_sgpr, 20
	.set _ZL25rocblas_symm_scale_kernelILi128ELi8E19rocblas_complex_numIdEPS1_EviiT1_T2_llli.num_named_barrier, 0
	.set _ZL25rocblas_symm_scale_kernelILi128ELi8E19rocblas_complex_numIdEPS1_EviiT1_T2_llli.private_seg_size, 0
	.set _ZL25rocblas_symm_scale_kernelILi128ELi8E19rocblas_complex_numIdEPS1_EviiT1_T2_llli.uses_vcc, 1
	.set _ZL25rocblas_symm_scale_kernelILi128ELi8E19rocblas_complex_numIdEPS1_EviiT1_T2_llli.uses_flat_scratch, 0
	.set _ZL25rocblas_symm_scale_kernelILi128ELi8E19rocblas_complex_numIdEPS1_EviiT1_T2_llli.has_dyn_sized_stack, 0
	.set _ZL25rocblas_symm_scale_kernelILi128ELi8E19rocblas_complex_numIdEPS1_EviiT1_T2_llli.has_recursion, 0
	.set _ZL25rocblas_symm_scale_kernelILi128ELi8E19rocblas_complex_numIdEPS1_EviiT1_T2_llli.has_indirect_call, 0
	.section	.AMDGPU.csdata,"",@progbits
; Kernel info:
; codeLenInByte = 520
; TotalNumSgprs: 22
; NumVgprs: 12
; ScratchSize: 0
; MemoryBound: 0
; FloatMode: 240
; IeeeMode: 1
; LDSByteSize: 0 bytes/workgroup (compile time only)
; SGPRBlocks: 0
; VGPRBlocks: 1
; NumSGPRsForWavesPerEU: 22
; NumVGPRsForWavesPerEU: 12
; Occupancy: 16
; WaveLimiterHint : 0
; COMPUTE_PGM_RSRC2:SCRATCH_EN: 0
; COMPUTE_PGM_RSRC2:USER_SGPR: 6
; COMPUTE_PGM_RSRC2:TRAP_HANDLER: 0
; COMPUTE_PGM_RSRC2:TGID_X_EN: 1
; COMPUTE_PGM_RSRC2:TGID_Y_EN: 1
; COMPUTE_PGM_RSRC2:TGID_Z_EN: 1
; COMPUTE_PGM_RSRC2:TIDIG_COMP_CNT: 1
	.section	.text._ZL24rocblas_symm_hemm_kernelILb0ELb0ELi32E19rocblas_complex_numIdEPKS1_PS1_EvbiiT2_T3_lllS6_lllT4_llli,"axG",@progbits,_ZL24rocblas_symm_hemm_kernelILb0ELb0ELi32E19rocblas_complex_numIdEPKS1_PS1_EvbiiT2_T3_lllS6_lllT4_llli,comdat
	.globl	_ZL24rocblas_symm_hemm_kernelILb0ELb0ELi32E19rocblas_complex_numIdEPKS1_PS1_EvbiiT2_T3_lllS6_lllT4_llli ; -- Begin function _ZL24rocblas_symm_hemm_kernelILb0ELb0ELi32E19rocblas_complex_numIdEPKS1_PS1_EvbiiT2_T3_lllS6_lllT4_llli
	.p2align	8
	.type	_ZL24rocblas_symm_hemm_kernelILb0ELb0ELi32E19rocblas_complex_numIdEPKS1_PS1_EvbiiT2_T3_lllS6_lllT4_llli,@function
_ZL24rocblas_symm_hemm_kernelILb0ELb0ELi32E19rocblas_complex_numIdEPKS1_PS1_EvbiiT2_T3_lllS6_lllT4_llli: ; @_ZL24rocblas_symm_hemm_kernelILb0ELb0ELi32E19rocblas_complex_numIdEPKS1_PS1_EvbiiT2_T3_lllS6_lllT4_llli
; %bb.0:
	s_load_dwordx16 s[12:27], s[4:5], 0x10
	s_waitcnt lgkmcnt(0)
	v_cmp_eq_f64_e64 s0, s[12:13], 0
	v_cmp_eq_f64_e64 s1, s[14:15], 0
	s_and_b32 s0, s0, s1
	s_and_b32 vcc_lo, exec_lo, s0
	s_cbranch_vccnz .LBB22_15
; %bb.1:
	s_load_dwordx4 s[28:31], s[4:5], 0x0
	s_waitcnt lgkmcnt(0)
	s_add_i32 s0, s30, -1
	s_ashr_i32 s1, s0, 31
	s_lshr_b32 s1, s1, 27
	s_add_i32 s0, s0, s1
	s_ashr_i32 s3, s0, 5
	s_cmp_gt_i32 s7, s3
	s_cbranch_scc1 .LBB22_15
; %bb.2:
	s_clause 0x1
	s_load_dwordx8 s[36:43], s[4:5], 0x50
	s_load_dwordx4 s[44:47], s[4:5], 0x70
	s_mul_i32 s1, s23, s8
	s_mul_hi_u32 s2, s22, s8
	s_mul_i32 s0, s22, s8
	s_add_i32 s1, s2, s1
	v_lshl_add_u32 v10, s6, 5, v0
	s_lshl_b64 s[0:1], s[0:1], 4
	s_load_dword s4, s[4:5], 0x8c
	s_add_u32 s2, s16, s0
	s_addc_u32 s6, s17, s1
	s_lshl_b64 s[0:1], s[18:19], 4
	v_lshlrev_b32_e32 v15, 9, v0
	s_add_u32 s5, s2, s0
	s_addc_u32 s6, s6, s1
	v_lshlrev_b32_e32 v2, 4, v1
	v_ashrrev_i32_e32 v11, 31, v10
	v_add_nc_u32_e32 v16, v15, v2
	s_waitcnt lgkmcnt(0)
	s_mul_i32 s1, s39, s8
	s_mul_hi_u32 s2, s38, s8
	s_mul_i32 s0, s38, s8
	s_add_i32 s1, s2, s1
	s_mul_i32 s2, s47, s8
	s_lshl_b64 s[0:1], s[0:1], 4
	s_mul_hi_u32 s11, s46, s8
	s_add_u32 s9, s24, s0
	s_addc_u32 s10, s25, s1
	s_lshl_b64 s[0:1], s[26:27], 4
	s_mul_i32 s16, s46, s8
	s_add_u32 s9, s9, s0
	s_addc_u32 s10, s10, s1
	s_bitcmp1_b32 s28, 0
	v_or_b32_e32 v17, 0x4000, v2
	s_cselect_b32 s0, -1, 0
	s_add_i32 s17, s11, s2
	v_lshlrev_b64 v[2:3], 4, v[10:11]
	s_lshl_b64 s[16:17], s[16:17], 4
	v_add_nc_u32_e32 v18, v17, v15
	s_add_u32 s1, s40, s16
	s_addc_u32 s2, s41, s17
	s_lshl_b64 s[16:17], s[42:43], 4
	s_add_u32 s8, s1, s16
	s_addc_u32 s2, s2, s17
	v_add_co_u32 v19, vcc_lo, s8, v2
	v_cmp_gt_i32_e64 s1, s29, v10
	v_add_co_ci_u32_e64 v20, null, s2, v3, vcc_lo
	s_cmp_gt_i32 s29, 0
	s_cselect_b32 s8, -1, 0
	s_branch .LBB22_4
.LBB22_3:                               ;   in Loop: Header=BB22_4 Depth=1
	s_add_i32 s7, s7, s4
	s_cmp_gt_i32 s7, s3
	s_cbranch_scc1 .LBB22_15
.LBB22_4:                               ; =>This Loop Header: Depth=1
                                        ;     Child Loop BB22_7 Depth 2
                                        ;       Child Loop BB22_13 Depth 3
	s_andn2_b32 vcc_lo, exec_lo, s8
	s_cbranch_vccnz .LBB22_3
; %bb.5:                                ;   in Loop: Header=BB22_4 Depth=1
	v_lshl_add_u32 v6, s7, 5, v1
	s_mov_b32 s16, 0
	v_ashrrev_i32_e32 v7, 31, v6
	v_mul_lo_u32 v8, s37, v6
	v_mad_u64_u32 v[2:3], null, s36, v6, 0
	v_mul_lo_u32 v11, s45, v6
	v_mul_lo_u32 v9, s36, v7
	v_mad_u64_u32 v[4:5], null, s44, v6, 0
	v_mul_lo_u32 v7, s44, v7
	v_cmp_gt_i32_e32 vcc_lo, s30, v6
	v_add3_u32 v3, v3, v9, v8
	s_and_b32 s11, s1, vcc_lo
	v_add3_u32 v5, v5, v7, v11
	v_lshlrev_b64 v[2:3], 4, v[2:3]
	v_lshlrev_b64 v[4:5], 4, v[4:5]
	v_add_co_u32 v21, s2, s9, v2
	v_add_co_ci_u32_e64 v22, null, s10, v3, s2
	v_add_co_u32 v11, s2, v19, v4
	v_add_co_ci_u32_e64 v12, null, v20, v5, s2
	s_branch .LBB22_7
.LBB22_6:                               ;   in Loop: Header=BB22_7 Depth=2
	s_or_b32 exec_lo, exec_lo, s2
	s_add_i32 s16, s16, 32
	s_waitcnt_vscnt null, 0x0
	s_cmp_ge_i32 s16, s29
	s_barrier
	buffer_gl0_inv
	s_cbranch_scc1 .LBB22_3
.LBB22_7:                               ;   Parent Loop BB22_4 Depth=1
                                        ; =>  This Loop Header: Depth=2
                                        ;       Child Loop BB22_13 Depth 3
	v_add_nc_u32_e32 v2, s16, v1
	v_mov_b32_e32 v6, 0
	v_mov_b32_e32 v8, 0
	;; [unrolled: 1-line block ×4, first 2 shown]
	v_cndmask_b32_e64 v3, v2, v10, s0
	v_cndmask_b32_e64 v4, v10, v2, s0
	s_mov_b32 s17, exec_lo
	v_cmp_gt_i32_e64 s2, v3, v4
	v_cndmask_b32_e64 v4, v10, v2, s2
	v_cndmask_b32_e64 v5, v2, v10, s2
	v_mov_b32_e32 v2, 0
	v_mov_b32_e32 v3, 0
	v_max_i32_e32 v13, v4, v5
	v_cmpx_gt_i32_e64 s29, v13
	s_cbranch_execz .LBB22_9
; %bb.8:                                ;   in Loop: Header=BB22_7 Depth=2
	v_ashrrev_i32_e32 v8, 31, v5
	v_mul_lo_u32 v9, s21, v5
	v_mad_u64_u32 v[6:7], null, s20, v5, 0
	v_mul_lo_u32 v5, s20, v8
	v_add3_u32 v7, v7, v5, v9
	v_ashrrev_i32_e32 v5, 31, v4
	v_lshlrev_b64 v[6:7], 4, v[6:7]
	v_lshlrev_b64 v[4:5], 4, v[4:5]
	v_add_co_u32 v6, s2, s5, v6
	v_add_co_ci_u32_e64 v7, null, s6, v7, s2
	v_add_co_u32 v4, s2, v6, v4
	v_add_co_ci_u32_e64 v5, null, v7, v5, s2
	global_load_dwordx4 v[6:9], v[4:5], off
.LBB22_9:                               ;   in Loop: Header=BB22_7 Depth=2
	s_or_b32 exec_lo, exec_lo, s17
	v_add_nc_u32_e32 v13, s16, v0
	v_mov_b32_e32 v4, 0
	v_mov_b32_e32 v5, 0
	s_waitcnt vmcnt(0)
	ds_write_b128 v16, v[6:9]
	v_cmp_gt_i32_e64 s2, s29, v13
	s_and_b32 s2, s2, vcc_lo
	s_and_saveexec_b32 s17, s2
	s_cbranch_execz .LBB22_11
; %bb.10:                               ;   in Loop: Header=BB22_7 Depth=2
	v_ashrrev_i32_e32 v14, 31, v13
	v_lshlrev_b64 v[2:3], 4, v[13:14]
	v_add_co_u32 v2, s2, v21, v2
	v_add_co_ci_u32_e64 v3, null, v22, v3, s2
	global_load_dwordx4 v[2:5], v[2:3], off
.LBB22_11:                              ;   in Loop: Header=BB22_7 Depth=2
	s_or_b32 exec_lo, exec_lo, s17
	s_waitcnt vmcnt(0)
	ds_write_b128 v18, v[2:5]
	s_waitcnt lgkmcnt(0)
	s_barrier
	buffer_gl0_inv
	s_and_saveexec_b32 s2, s11
	s_cbranch_execz .LBB22_6
; %bb.12:                               ;   in Loop: Header=BB22_7 Depth=2
	v_mov_b32_e32 v2, 0
	v_mov_b32_e32 v4, 0
	;; [unrolled: 1-line block ×5, first 2 shown]
	s_mov_b32 s17, 0
.LBB22_13:                              ;   Parent Loop BB22_4 Depth=1
                                        ;     Parent Loop BB22_7 Depth=2
                                        ; =>    This Inner Loop Header: Depth=3
	v_add_nc_u32_e32 v9, s17, v15
	s_addk_i32 s17, 0x80
	ds_read_b128 v[23:26], v6
	ds_read_b128 v[27:30], v9
	ds_read_b128 v[31:34], v6 offset:512
	ds_read_b128 v[35:38], v9 offset:16
	;; [unrolled: 1-line block ×3, first 2 shown]
	s_cmpk_eq_i32 s17, 0x200
	s_waitcnt lgkmcnt(3)
	v_mul_f64 v[7:8], v[25:26], v[29:30]
	v_mul_f64 v[13:14], v[23:24], v[29:30]
	s_waitcnt lgkmcnt(1)
	v_mul_f64 v[47:48], v[33:34], v[37:38]
	v_mul_f64 v[37:38], v[31:32], v[37:38]
	v_fma_f64 v[7:8], v[23:24], v[27:28], -v[7:8]
	v_fma_f64 v[13:14], v[25:26], v[27:28], v[13:14]
	ds_read_b128 v[23:26], v9 offset:32
	ds_read_b128 v[27:30], v6 offset:1536
	;; [unrolled: 1-line block ×3, first 2 shown]
	v_fma_f64 v[31:32], v[31:32], v[35:36], -v[47:48]
	v_fma_f64 v[33:34], v[33:34], v[35:36], v[37:38]
	s_waitcnt lgkmcnt(2)
	v_mul_f64 v[49:50], v[41:42], v[25:26]
	v_mul_f64 v[25:26], v[39:40], v[25:26]
	v_add_f64 v[7:8], v[2:3], v[7:8]
	v_add_f64 v[13:14], v[4:5], v[13:14]
	s_waitcnt lgkmcnt(0)
	v_mul_f64 v[47:48], v[29:30], v[45:46]
	v_mul_f64 v[45:46], v[27:28], v[45:46]
	ds_read_b128 v[2:5], v6 offset:2048
	v_fma_f64 v[39:40], v[39:40], v[23:24], -v[49:50]
	v_fma_f64 v[41:42], v[41:42], v[23:24], v[25:26]
	v_add_f64 v[7:8], v[7:8], v[31:32]
	v_add_f64 v[13:14], v[13:14], v[33:34]
	ds_read_b128 v[23:26], v9 offset:64
	ds_read_b128 v[31:34], v6 offset:2560
	;; [unrolled: 1-line block ×3, first 2 shown]
	v_fma_f64 v[47:48], v[27:28], v[43:44], -v[47:48]
	v_fma_f64 v[29:30], v[29:30], v[43:44], v[45:46]
	s_waitcnt lgkmcnt(2)
	v_mul_f64 v[49:50], v[4:5], v[25:26]
	v_mul_f64 v[51:52], v[2:3], v[25:26]
	v_add_f64 v[7:8], v[7:8], v[39:40]
	v_add_f64 v[13:14], v[13:14], v[41:42]
	s_waitcnt lgkmcnt(0)
	v_mul_f64 v[45:46], v[33:34], v[37:38]
	v_mul_f64 v[53:54], v[31:32], v[37:38]
	ds_read_b128 v[25:28], v6 offset:3072
	v_fma_f64 v[49:50], v[2:3], v[23:24], -v[49:50]
	v_fma_f64 v[23:24], v[4:5], v[23:24], v[51:52]
	v_add_f64 v[7:8], v[7:8], v[47:48]
	v_add_f64 v[13:14], v[13:14], v[29:30]
	ds_read_b128 v[2:5], v9 offset:96
	ds_read_b128 v[37:40], v6 offset:3584
	;; [unrolled: 1-line block ×3, first 2 shown]
	v_fma_f64 v[31:32], v[31:32], v[35:36], -v[45:46]
	v_fma_f64 v[33:34], v[33:34], v[35:36], v[53:54]
	v_add_nc_u32_e32 v6, 0x1000, v6
	s_waitcnt lgkmcnt(2)
	v_mul_f64 v[29:30], v[27:28], v[4:5]
	v_mul_f64 v[4:5], v[25:26], v[4:5]
	v_add_f64 v[7:8], v[7:8], v[49:50]
	v_add_f64 v[13:14], v[13:14], v[23:24]
	s_waitcnt lgkmcnt(0)
	v_mul_f64 v[23:24], v[39:40], v[43:44]
	v_mul_f64 v[35:36], v[37:38], v[43:44]
	v_fma_f64 v[25:26], v[25:26], v[2:3], -v[29:30]
	v_fma_f64 v[2:3], v[27:28], v[2:3], v[4:5]
	v_add_f64 v[4:5], v[7:8], v[31:32]
	v_add_f64 v[7:8], v[13:14], v[33:34]
	v_fma_f64 v[13:14], v[37:38], v[41:42], -v[23:24]
	v_fma_f64 v[23:24], v[39:40], v[41:42], v[35:36]
	v_add_f64 v[4:5], v[4:5], v[25:26]
	v_add_f64 v[7:8], v[7:8], v[2:3]
	;; [unrolled: 1-line block ×4, first 2 shown]
	s_cbranch_scc0 .LBB22_13
; %bb.14:                               ;   in Loop: Header=BB22_7 Depth=2
	global_load_dwordx4 v[6:9], v[11:12], off
	v_mul_f64 v[13:14], s[14:15], v[4:5]
	v_mul_f64 v[23:24], s[14:15], v[2:3]
	v_fma_f64 v[2:3], s[12:13], v[2:3], -v[13:14]
	v_fma_f64 v[4:5], s[12:13], v[4:5], v[23:24]
	s_waitcnt vmcnt(0)
	v_add_f64 v[2:3], v[2:3], v[6:7]
	v_add_f64 v[4:5], v[4:5], v[8:9]
	global_store_dwordx4 v[11:12], v[2:5], off
	s_branch .LBB22_6
.LBB22_15:
	s_endpgm
	.section	.rodata,"a",@progbits
	.p2align	6, 0x0
	.amdhsa_kernel _ZL24rocblas_symm_hemm_kernelILb0ELb0ELi32E19rocblas_complex_numIdEPKS1_PS1_EvbiiT2_T3_lllS6_lllT4_llli
		.amdhsa_group_segment_fixed_size 32768
		.amdhsa_private_segment_fixed_size 0
		.amdhsa_kernarg_size 392
		.amdhsa_user_sgpr_count 6
		.amdhsa_user_sgpr_private_segment_buffer 1
		.amdhsa_user_sgpr_dispatch_ptr 0
		.amdhsa_user_sgpr_queue_ptr 0
		.amdhsa_user_sgpr_kernarg_segment_ptr 1
		.amdhsa_user_sgpr_dispatch_id 0
		.amdhsa_user_sgpr_flat_scratch_init 0
		.amdhsa_user_sgpr_private_segment_size 0
		.amdhsa_wavefront_size32 1
		.amdhsa_uses_dynamic_stack 0
		.amdhsa_system_sgpr_private_segment_wavefront_offset 0
		.amdhsa_system_sgpr_workgroup_id_x 1
		.amdhsa_system_sgpr_workgroup_id_y 1
		.amdhsa_system_sgpr_workgroup_id_z 1
		.amdhsa_system_sgpr_workgroup_info 0
		.amdhsa_system_vgpr_workitem_id 1
		.amdhsa_next_free_vgpr 55
		.amdhsa_next_free_sgpr 48
		.amdhsa_reserve_vcc 1
		.amdhsa_reserve_flat_scratch 0
		.amdhsa_float_round_mode_32 0
		.amdhsa_float_round_mode_16_64 0
		.amdhsa_float_denorm_mode_32 3
		.amdhsa_float_denorm_mode_16_64 3
		.amdhsa_dx10_clamp 1
		.amdhsa_ieee_mode 1
		.amdhsa_fp16_overflow 0
		.amdhsa_workgroup_processor_mode 1
		.amdhsa_memory_ordered 1
		.amdhsa_forward_progress 1
		.amdhsa_shared_vgpr_count 0
		.amdhsa_exception_fp_ieee_invalid_op 0
		.amdhsa_exception_fp_denorm_src 0
		.amdhsa_exception_fp_ieee_div_zero 0
		.amdhsa_exception_fp_ieee_overflow 0
		.amdhsa_exception_fp_ieee_underflow 0
		.amdhsa_exception_fp_ieee_inexact 0
		.amdhsa_exception_int_div_zero 0
	.end_amdhsa_kernel
	.section	.text._ZL24rocblas_symm_hemm_kernelILb0ELb0ELi32E19rocblas_complex_numIdEPKS1_PS1_EvbiiT2_T3_lllS6_lllT4_llli,"axG",@progbits,_ZL24rocblas_symm_hemm_kernelILb0ELb0ELi32E19rocblas_complex_numIdEPKS1_PS1_EvbiiT2_T3_lllS6_lllT4_llli,comdat
.Lfunc_end22:
	.size	_ZL24rocblas_symm_hemm_kernelILb0ELb0ELi32E19rocblas_complex_numIdEPKS1_PS1_EvbiiT2_T3_lllS6_lllT4_llli, .Lfunc_end22-_ZL24rocblas_symm_hemm_kernelILb0ELb0ELi32E19rocblas_complex_numIdEPKS1_PS1_EvbiiT2_T3_lllS6_lllT4_llli
                                        ; -- End function
	.set _ZL24rocblas_symm_hemm_kernelILb0ELb0ELi32E19rocblas_complex_numIdEPKS1_PS1_EvbiiT2_T3_lllS6_lllT4_llli.num_vgpr, 55
	.set _ZL24rocblas_symm_hemm_kernelILb0ELb0ELi32E19rocblas_complex_numIdEPKS1_PS1_EvbiiT2_T3_lllS6_lllT4_llli.num_agpr, 0
	.set _ZL24rocblas_symm_hemm_kernelILb0ELb0ELi32E19rocblas_complex_numIdEPKS1_PS1_EvbiiT2_T3_lllS6_lllT4_llli.numbered_sgpr, 48
	.set _ZL24rocblas_symm_hemm_kernelILb0ELb0ELi32E19rocblas_complex_numIdEPKS1_PS1_EvbiiT2_T3_lllS6_lllT4_llli.num_named_barrier, 0
	.set _ZL24rocblas_symm_hemm_kernelILb0ELb0ELi32E19rocblas_complex_numIdEPKS1_PS1_EvbiiT2_T3_lllS6_lllT4_llli.private_seg_size, 0
	.set _ZL24rocblas_symm_hemm_kernelILb0ELb0ELi32E19rocblas_complex_numIdEPKS1_PS1_EvbiiT2_T3_lllS6_lllT4_llli.uses_vcc, 1
	.set _ZL24rocblas_symm_hemm_kernelILb0ELb0ELi32E19rocblas_complex_numIdEPKS1_PS1_EvbiiT2_T3_lllS6_lllT4_llli.uses_flat_scratch, 0
	.set _ZL24rocblas_symm_hemm_kernelILb0ELb0ELi32E19rocblas_complex_numIdEPKS1_PS1_EvbiiT2_T3_lllS6_lllT4_llli.has_dyn_sized_stack, 0
	.set _ZL24rocblas_symm_hemm_kernelILb0ELb0ELi32E19rocblas_complex_numIdEPKS1_PS1_EvbiiT2_T3_lllS6_lllT4_llli.has_recursion, 0
	.set _ZL24rocblas_symm_hemm_kernelILb0ELb0ELi32E19rocblas_complex_numIdEPKS1_PS1_EvbiiT2_T3_lllS6_lllT4_llli.has_indirect_call, 0
	.section	.AMDGPU.csdata,"",@progbits
; Kernel info:
; codeLenInByte = 1488
; TotalNumSgprs: 50
; NumVgprs: 55
; ScratchSize: 0
; MemoryBound: 1
; FloatMode: 240
; IeeeMode: 1
; LDSByteSize: 32768 bytes/workgroup (compile time only)
; SGPRBlocks: 0
; VGPRBlocks: 6
; NumSGPRsForWavesPerEU: 50
; NumVGPRsForWavesPerEU: 55
; Occupancy: 16
; WaveLimiterHint : 0
; COMPUTE_PGM_RSRC2:SCRATCH_EN: 0
; COMPUTE_PGM_RSRC2:USER_SGPR: 6
; COMPUTE_PGM_RSRC2:TRAP_HANDLER: 0
; COMPUTE_PGM_RSRC2:TGID_X_EN: 1
; COMPUTE_PGM_RSRC2:TGID_Y_EN: 1
; COMPUTE_PGM_RSRC2:TGID_Z_EN: 1
; COMPUTE_PGM_RSRC2:TIDIG_COMP_CNT: 1
	.section	.text._ZL24rocblas_symm_hemm_kernelILb0ELb1ELi32E19rocblas_complex_numIdEPKS1_PS1_EvbiiT2_T3_lllS6_lllT4_llli,"axG",@progbits,_ZL24rocblas_symm_hemm_kernelILb0ELb1ELi32E19rocblas_complex_numIdEPKS1_PS1_EvbiiT2_T3_lllS6_lllT4_llli,comdat
	.globl	_ZL24rocblas_symm_hemm_kernelILb0ELb1ELi32E19rocblas_complex_numIdEPKS1_PS1_EvbiiT2_T3_lllS6_lllT4_llli ; -- Begin function _ZL24rocblas_symm_hemm_kernelILb0ELb1ELi32E19rocblas_complex_numIdEPKS1_PS1_EvbiiT2_T3_lllS6_lllT4_llli
	.p2align	8
	.type	_ZL24rocblas_symm_hemm_kernelILb0ELb1ELi32E19rocblas_complex_numIdEPKS1_PS1_EvbiiT2_T3_lllS6_lllT4_llli,@function
_ZL24rocblas_symm_hemm_kernelILb0ELb1ELi32E19rocblas_complex_numIdEPKS1_PS1_EvbiiT2_T3_lllS6_lllT4_llli: ; @_ZL24rocblas_symm_hemm_kernelILb0ELb1ELi32E19rocblas_complex_numIdEPKS1_PS1_EvbiiT2_T3_lllS6_lllT4_llli
; %bb.0:
	s_load_dwordx16 s[12:27], s[4:5], 0x10
	s_waitcnt lgkmcnt(0)
	v_cmp_eq_f64_e64 s0, s[12:13], 0
	v_cmp_eq_f64_e64 s1, s[14:15], 0
	s_and_b32 s0, s0, s1
	s_and_b32 vcc_lo, exec_lo, s0
	s_cbranch_vccnz .LBB23_15
; %bb.1:
	s_load_dwordx4 s[28:31], s[4:5], 0x0
	s_waitcnt lgkmcnt(0)
	s_add_i32 s0, s30, -1
	s_ashr_i32 s1, s0, 31
	s_lshr_b32 s1, s1, 27
	s_add_i32 s0, s0, s1
	s_ashr_i32 s3, s0, 5
	s_cmp_gt_i32 s7, s3
	s_cbranch_scc1 .LBB23_15
; %bb.2:
	s_clause 0x1
	s_load_dwordx4 s[44:47], s[4:5], 0x70
	s_load_dwordx8 s[36:43], s[4:5], 0x50
	s_mul_i32 s1, s23, s8
	s_mul_hi_u32 s2, s22, s8
	s_mul_i32 s0, s22, s8
	s_add_i32 s1, s2, s1
	v_lshl_add_u32 v2, s6, 5, v0
	s_lshl_b64 s[0:1], s[0:1], 4
	s_load_dword s4, s[4:5], 0x8c
	s_add_u32 s2, s16, s0
	s_addc_u32 s9, s17, s1
	s_lshl_b64 s[0:1], s[18:19], 4
	v_ashrrev_i32_e32 v3, 31, v2
	s_add_u32 s6, s2, s0
	s_addc_u32 s9, s9, s1
	s_bitcmp1_b32 s28, 0
	v_lshlrev_b32_e32 v5, 4, v1
	s_cselect_b32 s0, -1, 0
	v_lshlrev_b64 v[3:4], 4, v[2:3]
	v_lshlrev_b32_e32 v14, 9, v0
	s_waitcnt lgkmcnt(0)
	s_mul_i32 s1, s47, s8
	s_mul_hi_u32 s2, s46, s8
	s_mul_i32 s10, s46, s8
	s_add_i32 s11, s2, s1
	s_mul_i32 s1, s39, s8
	s_lshl_b64 s[10:11], s[10:11], 4
	s_mul_hi_u32 s2, s38, s8
	s_add_u32 s5, s40, s10
	s_addc_u32 s17, s41, s11
	s_lshl_b64 s[10:11], s[42:43], 4
	s_mul_i32 s16, s38, s8
	s_add_u32 s5, s5, s10
	s_addc_u32 s8, s17, s11
	s_add_i32 s17, s2, s1
	v_or_b32_e32 v15, 0x4000, v5
	s_lshl_b64 s[10:11], s[16:17], 4
	v_add_nc_u32_e32 v18, v14, v5
	s_add_u32 s1, s24, s10
	s_addc_u32 s2, s25, s11
	s_lshl_b64 s[10:11], s[26:27], 4
	v_add_nc_u32_e32 v19, v15, v14
	s_add_u32 s10, s1, s10
	s_addc_u32 s2, s2, s11
	v_add_co_u32 v16, vcc_lo, s10, v3
	v_add_co_ci_u32_e64 v17, null, s2, v4, vcc_lo
	v_add_co_u32 v20, vcc_lo, s5, v3
	v_cmp_gt_i32_e64 s1, s29, v2
	v_add_co_ci_u32_e64 v21, null, s8, v4, vcc_lo
	s_cmp_gt_i32 s30, 0
	s_cselect_b32 s5, -1, 0
	s_branch .LBB23_4
.LBB23_3:                               ;   in Loop: Header=BB23_4 Depth=1
	s_add_i32 s7, s7, s4
	s_cmp_gt_i32 s7, s3
	s_cbranch_scc1 .LBB23_15
.LBB23_4:                               ; =>This Loop Header: Depth=1
                                        ;     Child Loop BB23_7 Depth 2
                                        ;       Child Loop BB23_13 Depth 3
	s_andn2_b32 vcc_lo, exec_lo, s5
	s_cbranch_vccnz .LBB23_3
; %bb.5:                                ;   in Loop: Header=BB23_4 Depth=1
	v_lshl_add_u32 v22, s7, 5, v1
	s_mov_b32 s8, 0
	v_ashrrev_i32_e32 v4, 31, v22
	v_mul_lo_u32 v5, s45, v22
	v_mad_u64_u32 v[2:3], null, s44, v22, 0
	v_cmp_gt_i32_e32 vcc_lo, s30, v22
	v_mul_lo_u32 v4, s44, v4
	v_add3_u32 v3, v3, v4, v5
	v_lshlrev_b64 v[2:3], 4, v[2:3]
	v_add_co_u32 v10, s2, v20, v2
	v_add_co_ci_u32_e64 v11, null, v21, v3, s2
	s_and_b32 s2, s1, vcc_lo
	s_branch .LBB23_7
.LBB23_6:                               ;   in Loop: Header=BB23_7 Depth=2
	s_or_b32 exec_lo, exec_lo, s10
	s_add_i32 s8, s8, 32
	s_waitcnt_vscnt null, 0x0
	s_cmp_ge_i32 s8, s30
	s_barrier
	buffer_gl0_inv
	s_cbranch_scc1 .LBB23_3
.LBB23_7:                               ;   Parent Loop BB23_4 Depth=1
                                        ; =>  This Loop Header: Depth=2
                                        ;       Child Loop BB23_13 Depth 3
	v_add_nc_u32_e32 v4, s8, v1
	v_mov_b32_e32 v2, 0
	v_mov_b32_e32 v6, 0
	v_mov_b32_e32 v8, 0
	v_mov_b32_e32 v3, 0
	v_cmp_gt_i32_e32 vcc_lo, s30, v4
	v_mov_b32_e32 v7, 0
	v_mov_b32_e32 v9, 0
	s_and_b32 s11, s1, vcc_lo
	s_and_saveexec_b32 s10, s11
	s_cbranch_execz .LBB23_9
; %bb.8:                                ;   in Loop: Header=BB23_7 Depth=2
	v_ashrrev_i32_e32 v6, 31, v4
	v_mul_lo_u32 v7, s37, v4
	v_mad_u64_u32 v[4:5], null, s36, v4, 0
	v_mul_lo_u32 v6, s36, v6
	v_add3_u32 v5, v5, v6, v7
	v_lshlrev_b64 v[4:5], 4, v[4:5]
	v_add_co_u32 v4, vcc_lo, v16, v4
	v_add_co_ci_u32_e64 v5, null, v17, v5, vcc_lo
	global_load_dwordx4 v[6:9], v[4:5], off
.LBB23_9:                               ;   in Loop: Header=BB23_7 Depth=2
	s_or_b32 exec_lo, exec_lo, s10
	v_add_nc_u32_e32 v4, s8, v0
	s_mov_b32 s10, exec_lo
	s_waitcnt vmcnt(0)
	ds_write_b128 v18, v[6:9]
	v_cndmask_b32_e64 v5, v22, v4, s0
	v_cndmask_b32_e64 v12, v4, v22, s0
	v_cmp_gt_i32_e32 vcc_lo, v5, v12
	v_cndmask_b32_e32 v12, v4, v22, vcc_lo
	v_cndmask_b32_e32 v13, v22, v4, vcc_lo
	v_mov_b32_e32 v4, 0
	v_mov_b32_e32 v5, 0
	v_max_i32_e32 v23, v12, v13
	v_cmpx_gt_i32_e64 s30, v23
	s_cbranch_execz .LBB23_11
; %bb.10:                               ;   in Loop: Header=BB23_7 Depth=2
	v_ashrrev_i32_e32 v4, 31, v13
	v_mul_lo_u32 v5, s21, v13
	v_mad_u64_u32 v[2:3], null, s20, v13, 0
	v_ashrrev_i32_e32 v13, 31, v12
	v_mul_lo_u32 v4, s20, v4
	v_add3_u32 v3, v3, v4, v5
	v_lshlrev_b64 v[4:5], 4, v[12:13]
	v_lshlrev_b64 v[2:3], 4, v[2:3]
	v_add_co_u32 v2, vcc_lo, s6, v2
	v_add_co_ci_u32_e64 v3, null, s9, v3, vcc_lo
	v_add_co_u32 v2, vcc_lo, v2, v4
	v_add_co_ci_u32_e64 v3, null, v3, v5, vcc_lo
	global_load_dwordx4 v[2:5], v[2:3], off
.LBB23_11:                              ;   in Loop: Header=BB23_7 Depth=2
	s_or_b32 exec_lo, exec_lo, s10
	s_waitcnt vmcnt(0)
	ds_write_b128 v19, v[2:5]
	s_waitcnt lgkmcnt(0)
	s_barrier
	buffer_gl0_inv
	s_and_saveexec_b32 s10, s2
	s_cbranch_execz .LBB23_6
; %bb.12:                               ;   in Loop: Header=BB23_7 Depth=2
	v_mov_b32_e32 v2, 0
	v_mov_b32_e32 v4, 0
	;; [unrolled: 1-line block ×5, first 2 shown]
	s_mov_b32 s11, 0
.LBB23_13:                              ;   Parent Loop BB23_4 Depth=1
                                        ;     Parent Loop BB23_7 Depth=2
                                        ; =>    This Inner Loop Header: Depth=3
	v_add_nc_u32_e32 v9, s11, v14
	s_addk_i32 s11, 0x80
	ds_read_b128 v[23:26], v6
	ds_read_b128 v[27:30], v9
	ds_read_b128 v[31:34], v6 offset:512
	ds_read_b128 v[35:38], v9 offset:16
	;; [unrolled: 1-line block ×3, first 2 shown]
	s_cmpk_eq_i32 s11, 0x200
	s_waitcnt lgkmcnt(3)
	v_mul_f64 v[7:8], v[25:26], v[29:30]
	v_mul_f64 v[12:13], v[23:24], v[29:30]
	s_waitcnt lgkmcnt(1)
	v_mul_f64 v[47:48], v[33:34], v[37:38]
	v_mul_f64 v[37:38], v[31:32], v[37:38]
	v_fma_f64 v[7:8], v[23:24], v[27:28], -v[7:8]
	v_fma_f64 v[12:13], v[25:26], v[27:28], v[12:13]
	ds_read_b128 v[23:26], v9 offset:32
	ds_read_b128 v[27:30], v6 offset:1536
	;; [unrolled: 1-line block ×3, first 2 shown]
	v_fma_f64 v[31:32], v[31:32], v[35:36], -v[47:48]
	v_fma_f64 v[33:34], v[33:34], v[35:36], v[37:38]
	s_waitcnt lgkmcnt(2)
	v_mul_f64 v[49:50], v[41:42], v[25:26]
	v_mul_f64 v[25:26], v[39:40], v[25:26]
	v_add_f64 v[7:8], v[2:3], v[7:8]
	v_add_f64 v[12:13], v[4:5], v[12:13]
	s_waitcnt lgkmcnt(0)
	v_mul_f64 v[47:48], v[29:30], v[45:46]
	v_mul_f64 v[45:46], v[27:28], v[45:46]
	ds_read_b128 v[2:5], v6 offset:2048
	v_fma_f64 v[39:40], v[39:40], v[23:24], -v[49:50]
	v_fma_f64 v[41:42], v[41:42], v[23:24], v[25:26]
	v_add_f64 v[7:8], v[7:8], v[31:32]
	v_add_f64 v[12:13], v[12:13], v[33:34]
	ds_read_b128 v[23:26], v9 offset:64
	ds_read_b128 v[31:34], v6 offset:2560
	;; [unrolled: 1-line block ×3, first 2 shown]
	v_fma_f64 v[47:48], v[27:28], v[43:44], -v[47:48]
	v_fma_f64 v[29:30], v[29:30], v[43:44], v[45:46]
	s_waitcnt lgkmcnt(2)
	v_mul_f64 v[49:50], v[4:5], v[25:26]
	v_mul_f64 v[51:52], v[2:3], v[25:26]
	v_add_f64 v[7:8], v[7:8], v[39:40]
	v_add_f64 v[12:13], v[12:13], v[41:42]
	s_waitcnt lgkmcnt(0)
	v_mul_f64 v[45:46], v[33:34], v[37:38]
	v_mul_f64 v[53:54], v[31:32], v[37:38]
	ds_read_b128 v[25:28], v6 offset:3072
	v_fma_f64 v[49:50], v[2:3], v[23:24], -v[49:50]
	v_fma_f64 v[23:24], v[4:5], v[23:24], v[51:52]
	v_add_f64 v[7:8], v[7:8], v[47:48]
	v_add_f64 v[12:13], v[12:13], v[29:30]
	ds_read_b128 v[2:5], v9 offset:96
	ds_read_b128 v[37:40], v6 offset:3584
	;; [unrolled: 1-line block ×3, first 2 shown]
	v_fma_f64 v[31:32], v[31:32], v[35:36], -v[45:46]
	v_fma_f64 v[33:34], v[33:34], v[35:36], v[53:54]
	v_add_nc_u32_e32 v6, 0x1000, v6
	s_waitcnt lgkmcnt(2)
	v_mul_f64 v[29:30], v[27:28], v[4:5]
	v_mul_f64 v[4:5], v[25:26], v[4:5]
	v_add_f64 v[7:8], v[7:8], v[49:50]
	v_add_f64 v[12:13], v[12:13], v[23:24]
	s_waitcnt lgkmcnt(0)
	v_mul_f64 v[23:24], v[39:40], v[43:44]
	v_mul_f64 v[35:36], v[37:38], v[43:44]
	v_fma_f64 v[25:26], v[25:26], v[2:3], -v[29:30]
	v_fma_f64 v[2:3], v[27:28], v[2:3], v[4:5]
	v_add_f64 v[4:5], v[7:8], v[31:32]
	v_add_f64 v[7:8], v[12:13], v[33:34]
	v_fma_f64 v[12:13], v[37:38], v[41:42], -v[23:24]
	v_fma_f64 v[23:24], v[39:40], v[41:42], v[35:36]
	v_add_f64 v[4:5], v[4:5], v[25:26]
	v_add_f64 v[7:8], v[7:8], v[2:3]
	v_add_f64 v[2:3], v[4:5], v[12:13]
	v_add_f64 v[4:5], v[7:8], v[23:24]
	s_cbranch_scc0 .LBB23_13
; %bb.14:                               ;   in Loop: Header=BB23_7 Depth=2
	global_load_dwordx4 v[6:9], v[10:11], off
	v_mul_f64 v[12:13], s[14:15], v[4:5]
	v_mul_f64 v[23:24], s[14:15], v[2:3]
	v_fma_f64 v[2:3], s[12:13], v[2:3], -v[12:13]
	v_fma_f64 v[4:5], s[12:13], v[4:5], v[23:24]
	s_waitcnt vmcnt(0)
	v_add_f64 v[2:3], v[2:3], v[6:7]
	v_add_f64 v[4:5], v[4:5], v[8:9]
	global_store_dwordx4 v[10:11], v[2:5], off
	s_branch .LBB23_6
.LBB23_15:
	s_endpgm
	.section	.rodata,"a",@progbits
	.p2align	6, 0x0
	.amdhsa_kernel _ZL24rocblas_symm_hemm_kernelILb0ELb1ELi32E19rocblas_complex_numIdEPKS1_PS1_EvbiiT2_T3_lllS6_lllT4_llli
		.amdhsa_group_segment_fixed_size 32768
		.amdhsa_private_segment_fixed_size 0
		.amdhsa_kernarg_size 392
		.amdhsa_user_sgpr_count 6
		.amdhsa_user_sgpr_private_segment_buffer 1
		.amdhsa_user_sgpr_dispatch_ptr 0
		.amdhsa_user_sgpr_queue_ptr 0
		.amdhsa_user_sgpr_kernarg_segment_ptr 1
		.amdhsa_user_sgpr_dispatch_id 0
		.amdhsa_user_sgpr_flat_scratch_init 0
		.amdhsa_user_sgpr_private_segment_size 0
		.amdhsa_wavefront_size32 1
		.amdhsa_uses_dynamic_stack 0
		.amdhsa_system_sgpr_private_segment_wavefront_offset 0
		.amdhsa_system_sgpr_workgroup_id_x 1
		.amdhsa_system_sgpr_workgroup_id_y 1
		.amdhsa_system_sgpr_workgroup_id_z 1
		.amdhsa_system_sgpr_workgroup_info 0
		.amdhsa_system_vgpr_workitem_id 1
		.amdhsa_next_free_vgpr 55
		.amdhsa_next_free_sgpr 48
		.amdhsa_reserve_vcc 1
		.amdhsa_reserve_flat_scratch 0
		.amdhsa_float_round_mode_32 0
		.amdhsa_float_round_mode_16_64 0
		.amdhsa_float_denorm_mode_32 3
		.amdhsa_float_denorm_mode_16_64 3
		.amdhsa_dx10_clamp 1
		.amdhsa_ieee_mode 1
		.amdhsa_fp16_overflow 0
		.amdhsa_workgroup_processor_mode 1
		.amdhsa_memory_ordered 1
		.amdhsa_forward_progress 1
		.amdhsa_shared_vgpr_count 0
		.amdhsa_exception_fp_ieee_invalid_op 0
		.amdhsa_exception_fp_denorm_src 0
		.amdhsa_exception_fp_ieee_div_zero 0
		.amdhsa_exception_fp_ieee_overflow 0
		.amdhsa_exception_fp_ieee_underflow 0
		.amdhsa_exception_fp_ieee_inexact 0
		.amdhsa_exception_int_div_zero 0
	.end_amdhsa_kernel
	.section	.text._ZL24rocblas_symm_hemm_kernelILb0ELb1ELi32E19rocblas_complex_numIdEPKS1_PS1_EvbiiT2_T3_lllS6_lllT4_llli,"axG",@progbits,_ZL24rocblas_symm_hemm_kernelILb0ELb1ELi32E19rocblas_complex_numIdEPKS1_PS1_EvbiiT2_T3_lllS6_lllT4_llli,comdat
.Lfunc_end23:
	.size	_ZL24rocblas_symm_hemm_kernelILb0ELb1ELi32E19rocblas_complex_numIdEPKS1_PS1_EvbiiT2_T3_lllS6_lllT4_llli, .Lfunc_end23-_ZL24rocblas_symm_hemm_kernelILb0ELb1ELi32E19rocblas_complex_numIdEPKS1_PS1_EvbiiT2_T3_lllS6_lllT4_llli
                                        ; -- End function
	.set _ZL24rocblas_symm_hemm_kernelILb0ELb1ELi32E19rocblas_complex_numIdEPKS1_PS1_EvbiiT2_T3_lllS6_lllT4_llli.num_vgpr, 55
	.set _ZL24rocblas_symm_hemm_kernelILb0ELb1ELi32E19rocblas_complex_numIdEPKS1_PS1_EvbiiT2_T3_lllS6_lllT4_llli.num_agpr, 0
	.set _ZL24rocblas_symm_hemm_kernelILb0ELb1ELi32E19rocblas_complex_numIdEPKS1_PS1_EvbiiT2_T3_lllS6_lllT4_llli.numbered_sgpr, 48
	.set _ZL24rocblas_symm_hemm_kernelILb0ELb1ELi32E19rocblas_complex_numIdEPKS1_PS1_EvbiiT2_T3_lllS6_lllT4_llli.num_named_barrier, 0
	.set _ZL24rocblas_symm_hemm_kernelILb0ELb1ELi32E19rocblas_complex_numIdEPKS1_PS1_EvbiiT2_T3_lllS6_lllT4_llli.private_seg_size, 0
	.set _ZL24rocblas_symm_hemm_kernelILb0ELb1ELi32E19rocblas_complex_numIdEPKS1_PS1_EvbiiT2_T3_lllS6_lllT4_llli.uses_vcc, 1
	.set _ZL24rocblas_symm_hemm_kernelILb0ELb1ELi32E19rocblas_complex_numIdEPKS1_PS1_EvbiiT2_T3_lllS6_lllT4_llli.uses_flat_scratch, 0
	.set _ZL24rocblas_symm_hemm_kernelILb0ELb1ELi32E19rocblas_complex_numIdEPKS1_PS1_EvbiiT2_T3_lllS6_lllT4_llli.has_dyn_sized_stack, 0
	.set _ZL24rocblas_symm_hemm_kernelILb0ELb1ELi32E19rocblas_complex_numIdEPKS1_PS1_EvbiiT2_T3_lllS6_lllT4_llli.has_recursion, 0
	.set _ZL24rocblas_symm_hemm_kernelILb0ELb1ELi32E19rocblas_complex_numIdEPKS1_PS1_EvbiiT2_T3_lllS6_lllT4_llli.has_indirect_call, 0
	.section	.AMDGPU.csdata,"",@progbits
; Kernel info:
; codeLenInByte = 1464
; TotalNumSgprs: 50
; NumVgprs: 55
; ScratchSize: 0
; MemoryBound: 1
; FloatMode: 240
; IeeeMode: 1
; LDSByteSize: 32768 bytes/workgroup (compile time only)
; SGPRBlocks: 0
; VGPRBlocks: 6
; NumSGPRsForWavesPerEU: 50
; NumVGPRsForWavesPerEU: 55
; Occupancy: 16
; WaveLimiterHint : 0
; COMPUTE_PGM_RSRC2:SCRATCH_EN: 0
; COMPUTE_PGM_RSRC2:USER_SGPR: 6
; COMPUTE_PGM_RSRC2:TRAP_HANDLER: 0
; COMPUTE_PGM_RSRC2:TGID_X_EN: 1
; COMPUTE_PGM_RSRC2:TGID_Y_EN: 1
; COMPUTE_PGM_RSRC2:TGID_Z_EN: 1
; COMPUTE_PGM_RSRC2:TIDIG_COMP_CNT: 1
	.section	.text._ZL24rocblas_symm_hemm_kernelILb1ELb0ELi32EPK19rocblas_complex_numIfES3_PS1_EvbiiT2_T3_lllS6_lllT4_llli,"axG",@progbits,_ZL24rocblas_symm_hemm_kernelILb1ELb0ELi32EPK19rocblas_complex_numIfES3_PS1_EvbiiT2_T3_lllS6_lllT4_llli,comdat
	.globl	_ZL24rocblas_symm_hemm_kernelILb1ELb0ELi32EPK19rocblas_complex_numIfES3_PS1_EvbiiT2_T3_lllS6_lllT4_llli ; -- Begin function _ZL24rocblas_symm_hemm_kernelILb1ELb0ELi32EPK19rocblas_complex_numIfES3_PS1_EvbiiT2_T3_lllS6_lllT4_llli
	.p2align	8
	.type	_ZL24rocblas_symm_hemm_kernelILb1ELb0ELi32EPK19rocblas_complex_numIfES3_PS1_EvbiiT2_T3_lllS6_lllT4_llli,@function
_ZL24rocblas_symm_hemm_kernelILb1ELb0ELi32EPK19rocblas_complex_numIfES3_PS1_EvbiiT2_T3_lllS6_lllT4_llli: ; @_ZL24rocblas_symm_hemm_kernelILb1ELb0ELi32EPK19rocblas_complex_numIfES3_PS1_EvbiiT2_T3_lllS6_lllT4_llli
; %bb.0:
	s_load_dwordx16 s[12:27], s[4:5], 0x10
	s_waitcnt lgkmcnt(0)
	s_load_dwordx2 s[10:11], s[12:13], 0x0
	s_waitcnt lgkmcnt(0)
	v_cmp_eq_f32_e64 s0, s10, 0
	v_cmp_eq_f32_e64 s1, s11, 0
	s_and_b32 s0, s0, s1
	s_and_b32 vcc_lo, exec_lo, s0
	s_cbranch_vccnz .LBB24_21
; %bb.1:
	s_load_dwordx4 s[28:31], s[4:5], 0x0
	s_waitcnt lgkmcnt(0)
	s_add_i32 s0, s30, -1
	s_ashr_i32 s1, s0, 31
	s_lshr_b32 s1, s1, 27
	s_add_i32 s0, s0, s1
	s_ashr_i32 s9, s0, 5
	s_cmp_gt_i32 s7, s9
	s_cbranch_scc1 .LBB24_21
; %bb.2:
	s_clause 0x1
	s_load_dwordx8 s[36:43], s[4:5], 0x50
	s_load_dwordx2 s[0:1], s[4:5], 0x70
	v_lshl_add_u32 v2, s6, 5, v0
	s_load_dword s4, s[4:5], 0x84
	s_mul_i32 s3, s21, s8
	s_mul_hi_u32 s21, s20, s8
	s_mul_i32 s2, s20, s8
	v_ashrrev_i32_e32 v3, 31, v2
	v_mul_lo_u32 v6, s19, v2
	v_mad_u64_u32 v[4:5], null, s18, v2, 0
	v_lshlrev_b32_e32 v8, 3, v1
	v_mul_lo_u32 v7, s18, v3
	v_lshlrev_b32_e32 v13, 8, v0
	v_or_b32_e32 v14, 0x2000, v8
	v_add_nc_u32_e32 v19, v13, v8
	v_add3_u32 v5, v5, v7, v6
	s_waitcnt lgkmcnt(0)
	s_mul_i32 s5, s37, s8
	s_mul_hi_u32 s6, s36, s8
	s_mul_i32 s12, s36, s8
	s_add_i32 s13, s6, s5
	s_mul_i32 s1, s1, s8
	s_lshl_b64 s[12:13], s[12:13], 3
	s_mul_hi_u32 s20, s0, s8
	s_add_u32 s5, s22, s12
	s_addc_u32 s6, s23, s13
	s_lshl_b64 s[12:13], s[24:25], 3
	v_lshlrev_b64 v[6:7], 3, v[2:3]
	s_add_u32 s5, s5, s12
	s_addc_u32 s6, s6, s13
	s_bitcmp1_b32 s28, 0
	s_mul_i32 s12, s0, s8
	s_cselect_b32 s0, -1, 0
	s_add_i32 s13, s20, s1
	v_lshlrev_b64 v[3:4], 3, v[4:5]
	s_lshl_b64 s[12:13], s[12:13], 3
	v_add_nc_u32_e32 v20, v14, v13
	s_add_u32 s1, s38, s12
	s_addc_u32 s8, s39, s13
	s_lshl_b64 s[12:13], s[40:41], 3
	v_add_nc_u32_e32 v23, 0x800, v14
	s_add_u32 s12, s1, s12
	s_addc_u32 s8, s8, s13
	s_add_i32 s3, s21, s3
	v_add_nc_u32_e32 v24, 0x1000, v14
	s_lshl_b64 s[2:3], s[2:3], 3
	v_add_nc_u32_e32 v25, 0x1800, v14
	s_add_u32 s1, s14, s2
	s_addc_u32 s13, s15, s3
	s_lshl_b64 s[2:3], s[16:17], 3
	s_add_u32 s1, s1, s2
	s_addc_u32 s2, s13, s3
	v_add_co_u32 v15, vcc_lo, s1, v6
	v_add_co_ci_u32_e64 v16, null, s2, v7, vcc_lo
	v_add_co_u32 v17, vcc_lo, s1, v3
	v_add_co_ci_u32_e64 v18, null, s2, v4, vcc_lo
	;; [unrolled: 2-line block ×3, first 2 shown]
	v_add_co_u32 v3, vcc_lo, v15, v3
	v_cmp_gt_i32_e64 s1, s29, v2
	v_add_co_ci_u32_e64 v4, null, v16, v4, vcc_lo
	s_cmp_gt_i32 s29, 0
	s_cselect_b32 s8, -1, 0
	s_branch .LBB24_4
.LBB24_3:                               ;   in Loop: Header=BB24_4 Depth=1
	s_add_i32 s7, s7, s4
	s_cmp_gt_i32 s7, s9
	s_cbranch_scc1 .LBB24_21
.LBB24_4:                               ; =>This Loop Header: Depth=1
                                        ;     Child Loop BB24_7 Depth 2
	s_andn2_b32 vcc_lo, exec_lo, s8
	s_cbranch_vccnz .LBB24_3
; %bb.5:                                ;   in Loop: Header=BB24_4 Depth=1
	v_lshl_add_u32 v9, s7, 5, v1
	s_mov_b32 s13, 0
	v_ashrrev_i32_e32 v10, 31, v9
	v_mul_lo_u32 v11, s27, v9
	v_mad_u64_u32 v[5:6], null, s26, v9, 0
	v_mul_lo_u32 v26, s43, v9
	v_mul_lo_u32 v12, s26, v10
	v_mad_u64_u32 v[7:8], null, s42, v9, 0
	v_mul_lo_u32 v10, s42, v10
	v_cmp_gt_i32_e32 vcc_lo, s30, v9
	v_add3_u32 v6, v6, v12, v11
	s_and_b32 s12, s1, vcc_lo
	v_add3_u32 v8, v8, v10, v26
	v_lshlrev_b64 v[5:6], 3, v[5:6]
	v_lshlrev_b64 v[7:8], 3, v[7:8]
	v_add_co_u32 v26, s2, s5, v5
	v_add_co_ci_u32_e64 v27, null, s6, v6, s2
	v_add_co_u32 v5, s2, v21, v7
	v_add_co_ci_u32_e64 v6, null, v22, v8, s2
	s_branch .LBB24_7
.LBB24_6:                               ;   in Loop: Header=BB24_7 Depth=2
	s_or_b32 exec_lo, exec_lo, s2
	s_add_i32 s13, s13, 32
	s_waitcnt_vscnt null, 0x0
	s_cmp_ge_i32 s13, s29
	s_barrier
	buffer_gl0_inv
	s_cbranch_scc1 .LBB24_3
.LBB24_7:                               ;   Parent Loop BB24_4 Depth=1
                                        ; =>  This Inner Loop Header: Depth=2
	v_add_nc_u32_e32 v8, s13, v1
	s_mov_b32 s14, exec_lo
	v_cndmask_b32_e64 v10, v8, v2, s0
	v_cndmask_b32_e64 v11, v2, v8, s0
	v_cmp_gt_i32_e64 s2, v10, v11
	v_cndmask_b32_e64 v7, v2, v8, s2
	v_cndmask_b32_e64 v9, v8, v2, s2
	v_cmp_le_i32_e64 s2, v10, v11
	v_mov_b32_e32 v10, 0
	v_max_i32_e32 v12, v7, v9
	v_mov_b32_e32 v7, 0
	v_mov_b32_e32 v9, 0
	v_cmpx_gt_i32_e64 s29, v12
	s_cbranch_execz .LBB24_17
; %bb.8:                                ;   in Loop: Header=BB24_7 Depth=2
                                        ; implicit-def: $vgpr10
	s_and_saveexec_b32 s3, s2
	s_xor_b32 s3, exec_lo, s3
	s_cbranch_execz .LBB24_14
; %bb.9:                                ;   in Loop: Header=BB24_7 Depth=2
	s_mov_b32 s15, exec_lo
                                        ; implicit-def: $vgpr10
	v_cmpx_ne_u32_e64 v8, v2
	s_xor_b32 s15, exec_lo, s15
	s_cbranch_execz .LBB24_11
; %bb.10:                               ;   in Loop: Header=BB24_7 Depth=2
	v_ashrrev_i32_e32 v10, 31, v8
	v_mul_lo_u32 v11, s19, v8
	v_mad_u64_u32 v[8:9], null, s18, v8, 0
	v_mul_lo_u32 v10, s18, v10
	v_add3_u32 v9, v9, v10, v11
	v_lshlrev_b64 v[8:9], 3, v[8:9]
	v_add_co_u32 v8, s2, v15, v8
	v_add_co_ci_u32_e64 v9, null, v16, v9, s2
	global_load_dwordx2 v[9:10], v[8:9], off
.LBB24_11:                              ;   in Loop: Header=BB24_7 Depth=2
	s_andn2_saveexec_b32 s2, s15
	s_cbranch_execz .LBB24_13
; %bb.12:                               ;   in Loop: Header=BB24_7 Depth=2
	global_load_dword v9, v[3:4], off
	s_waitcnt vmcnt(1)
	v_mov_b32_e32 v10, 0
.LBB24_13:                              ;   in Loop: Header=BB24_7 Depth=2
	s_or_b32 exec_lo, exec_lo, s2
                                        ; implicit-def: $vgpr8
.LBB24_14:                              ;   in Loop: Header=BB24_7 Depth=2
	s_andn2_saveexec_b32 s3, s3
	s_cbranch_execz .LBB24_16
; %bb.15:                               ;   in Loop: Header=BB24_7 Depth=2
	s_waitcnt vmcnt(0)
	v_ashrrev_i32_e32 v9, 31, v8
	v_lshlrev_b64 v[8:9], 3, v[8:9]
	v_add_co_u32 v8, s2, v17, v8
	v_add_co_ci_u32_e64 v9, null, v18, v9, s2
	global_load_dwordx2 v[9:10], v[8:9], off
	s_waitcnt vmcnt(0)
	v_xor_b32_e32 v10, 0x80000000, v10
.LBB24_16:                              ;   in Loop: Header=BB24_7 Depth=2
	s_or_b32 exec_lo, exec_lo, s3
.LBB24_17:                              ;   in Loop: Header=BB24_7 Depth=2
	s_or_b32 exec_lo, exec_lo, s14
	v_add_nc_u32_e32 v11, s13, v0
	v_mov_b32_e32 v8, 0
	s_waitcnt vmcnt(0)
	ds_write_b64 v19, v[9:10]
	v_cmp_gt_i32_e64 s2, s29, v11
	s_and_b32 s2, s2, vcc_lo
	s_and_saveexec_b32 s3, s2
	s_cbranch_execz .LBB24_19
; %bb.18:                               ;   in Loop: Header=BB24_7 Depth=2
	v_ashrrev_i32_e32 v12, 31, v11
	v_lshlrev_b64 v[7:8], 3, v[11:12]
	v_add_co_u32 v7, s2, v26, v7
	v_add_co_ci_u32_e64 v8, null, v27, v8, s2
	global_load_dwordx2 v[7:8], v[7:8], off
.LBB24_19:                              ;   in Loop: Header=BB24_7 Depth=2
	s_or_b32 exec_lo, exec_lo, s3
	s_waitcnt vmcnt(0)
	ds_write_b64 v20, v[7:8]
	s_waitcnt lgkmcnt(0)
	s_barrier
	buffer_gl0_inv
	s_and_saveexec_b32 s2, s12
	s_cbranch_execz .LBB24_6
; %bb.20:                               ;   in Loop: Header=BB24_7 Depth=2
	ds_read_b128 v[7:10], v13
	ds_read_b128 v[28:31], v13 offset:16
	ds_read_b128 v[32:35], v13 offset:32
	;; [unrolled: 1-line block ×3, first 2 shown]
	ds_read2_b64 v[40:43], v14 offset1:32
	s_waitcnt lgkmcnt(0)
	v_mul_f32_e32 v11, v41, v8
	v_mul_f32_e32 v8, v40, v8
	v_fma_f32 v11, v40, v7, -v11
	v_fmac_f32_e32 v8, v41, v7
	v_add_f32_e32 v7, 0, v11
	v_mul_f32_e32 v11, v43, v10
	v_mul_f32_e32 v10, v42, v10
	v_add_f32_e32 v8, 0, v8
	v_fma_f32 v11, v42, v9, -v11
	v_fmac_f32_e32 v10, v43, v9
	v_add_f32_e32 v11, v7, v11
	v_add_f32_e32 v12, v8, v10
	ds_read2_b64 v[7:10], v14 offset0:64 offset1:96
	s_waitcnt lgkmcnt(0)
	v_mul_f32_e32 v40, v8, v29
	v_fma_f32 v40, v7, v28, -v40
	v_mul_f32_e32 v7, v7, v29
	v_fmac_f32_e32 v7, v8, v28
	v_add_f32_e32 v8, v11, v40
	v_mul_f32_e32 v11, v10, v31
	v_add_f32_e32 v7, v12, v7
	v_fma_f32 v11, v9, v30, -v11
	v_mul_f32_e32 v9, v9, v31
	v_add_f32_e32 v11, v8, v11
	v_fmac_f32_e32 v9, v10, v30
	v_add_f32_e32 v12, v7, v9
	ds_read2_b64 v[7:10], v14 offset0:128 offset1:160
	s_waitcnt lgkmcnt(0)
	v_mul_f32_e32 v28, v8, v33
	v_fma_f32 v28, v7, v32, -v28
	v_mul_f32_e32 v7, v7, v33
	v_fmac_f32_e32 v7, v8, v32
	v_add_f32_e32 v8, v11, v28
	v_mul_f32_e32 v11, v10, v35
	v_add_f32_e32 v7, v12, v7
	v_fma_f32 v11, v9, v34, -v11
	v_mul_f32_e32 v9, v9, v35
	v_add_f32_e32 v11, v8, v11
	v_fmac_f32_e32 v9, v10, v34
	;; [unrolled: 14-line block ×3, first 2 shown]
	v_add_f32_e32 v12, v7, v9
	ds_read_b128 v[7:10], v13 offset:64
	ds_read2_b64 v[28:31], v23 offset1:32
	s_waitcnt lgkmcnt(0)
	v_mul_f32_e32 v32, v29, v8
	v_mul_f32_e32 v8, v28, v8
	v_fma_f32 v32, v28, v7, -v32
	v_fmac_f32_e32 v8, v29, v7
	v_add_f32_e32 v7, v11, v32
	v_mul_f32_e32 v11, v31, v10
	v_mul_f32_e32 v10, v30, v10
	v_add_f32_e32 v8, v12, v8
	v_fma_f32 v11, v30, v9, -v11
	v_fmac_f32_e32 v10, v31, v9
	v_add_f32_e32 v11, v7, v11
	v_add_f32_e32 v12, v8, v10
	ds_read_b128 v[7:10], v13 offset:80
	ds_read2_b64 v[28:31], v23 offset0:64 offset1:96
	s_waitcnt lgkmcnt(0)
	v_mul_f32_e32 v32, v29, v8
	v_mul_f32_e32 v8, v28, v8
	v_fma_f32 v32, v28, v7, -v32
	v_fmac_f32_e32 v8, v29, v7
	v_add_f32_e32 v7, v11, v32
	v_mul_f32_e32 v11, v31, v10
	v_mul_f32_e32 v10, v30, v10
	v_add_f32_e32 v8, v12, v8
	v_fma_f32 v11, v30, v9, -v11
	v_fmac_f32_e32 v10, v31, v9
	v_add_f32_e32 v11, v7, v11
	v_add_f32_e32 v12, v8, v10
	ds_read_b128 v[7:10], v13 offset:96
	ds_read2_b64 v[28:31], v23 offset0:128 offset1:160
	s_waitcnt lgkmcnt(0)
	v_mul_f32_e32 v32, v29, v8
	v_mul_f32_e32 v8, v28, v8
	v_fma_f32 v32, v28, v7, -v32
	v_fmac_f32_e32 v8, v29, v7
	v_add_f32_e32 v7, v11, v32
	v_mul_f32_e32 v11, v31, v10
	v_mul_f32_e32 v10, v30, v10
	v_add_f32_e32 v8, v12, v8
	v_fma_f32 v11, v30, v9, -v11
	v_fmac_f32_e32 v10, v31, v9
	v_add_f32_e32 v11, v7, v11
	v_add_f32_e32 v12, v8, v10
	ds_read_b128 v[7:10], v13 offset:112
	ds_read2_b64 v[28:31], v23 offset0:192 offset1:224
	s_waitcnt lgkmcnt(0)
	v_mul_f32_e32 v32, v29, v8
	v_mul_f32_e32 v8, v28, v8
	v_fma_f32 v32, v28, v7, -v32
	v_fmac_f32_e32 v8, v29, v7
	v_add_f32_e32 v7, v11, v32
	v_mul_f32_e32 v11, v31, v10
	v_mul_f32_e32 v10, v30, v10
	v_add_f32_e32 v8, v12, v8
	v_fma_f32 v11, v30, v9, -v11
	v_fmac_f32_e32 v10, v31, v9
	v_add_f32_e32 v11, v7, v11
	v_add_f32_e32 v12, v8, v10
	ds_read_b128 v[7:10], v13 offset:128
	ds_read2_b64 v[28:31], v24 offset1:32
	s_waitcnt lgkmcnt(0)
	v_mul_f32_e32 v32, v29, v8
	v_mul_f32_e32 v8, v28, v8
	v_fma_f32 v32, v28, v7, -v32
	v_fmac_f32_e32 v8, v29, v7
	v_add_f32_e32 v7, v11, v32
	v_mul_f32_e32 v11, v31, v10
	v_mul_f32_e32 v10, v30, v10
	v_add_f32_e32 v8, v12, v8
	v_fma_f32 v11, v30, v9, -v11
	v_fmac_f32_e32 v10, v31, v9
	v_add_f32_e32 v11, v7, v11
	v_add_f32_e32 v12, v8, v10
	ds_read_b128 v[7:10], v13 offset:144
	ds_read2_b64 v[28:31], v24 offset0:64 offset1:96
	s_waitcnt lgkmcnt(0)
	v_mul_f32_e32 v32, v29, v8
	v_mul_f32_e32 v8, v28, v8
	v_fma_f32 v32, v28, v7, -v32
	v_fmac_f32_e32 v8, v29, v7
	v_add_f32_e32 v7, v11, v32
	v_mul_f32_e32 v11, v31, v10
	v_mul_f32_e32 v10, v30, v10
	v_add_f32_e32 v8, v12, v8
	v_fma_f32 v11, v30, v9, -v11
	v_fmac_f32_e32 v10, v31, v9
	v_add_f32_e32 v11, v7, v11
	v_add_f32_e32 v12, v8, v10
	ds_read_b128 v[7:10], v13 offset:160
	ds_read2_b64 v[28:31], v24 offset0:128 offset1:160
	s_waitcnt lgkmcnt(0)
	v_mul_f32_e32 v32, v29, v8
	v_mul_f32_e32 v8, v28, v8
	v_fma_f32 v32, v28, v7, -v32
	v_fmac_f32_e32 v8, v29, v7
	v_add_f32_e32 v7, v11, v32
	v_mul_f32_e32 v11, v31, v10
	v_mul_f32_e32 v10, v30, v10
	v_add_f32_e32 v8, v12, v8
	v_fma_f32 v11, v30, v9, -v11
	v_fmac_f32_e32 v10, v31, v9
	v_add_f32_e32 v11, v7, v11
	v_add_f32_e32 v12, v8, v10
	ds_read_b128 v[7:10], v13 offset:176
	ds_read2_b64 v[28:31], v24 offset0:192 offset1:224
	s_waitcnt lgkmcnt(0)
	v_mul_f32_e32 v32, v29, v8
	v_mul_f32_e32 v8, v28, v8
	v_fma_f32 v32, v28, v7, -v32
	v_fmac_f32_e32 v8, v29, v7
	v_add_f32_e32 v7, v11, v32
	v_mul_f32_e32 v11, v31, v10
	v_mul_f32_e32 v10, v30, v10
	v_add_f32_e32 v8, v12, v8
	v_fma_f32 v11, v30, v9, -v11
	v_fmac_f32_e32 v10, v31, v9
	v_add_f32_e32 v11, v7, v11
	v_add_f32_e32 v12, v8, v10
	ds_read_b128 v[7:10], v13 offset:192
	ds_read2_b64 v[28:31], v25 offset1:32
	s_waitcnt lgkmcnt(0)
	v_mul_f32_e32 v32, v29, v8
	v_mul_f32_e32 v8, v28, v8
	v_fma_f32 v32, v28, v7, -v32
	v_fmac_f32_e32 v8, v29, v7
	v_add_f32_e32 v7, v11, v32
	v_mul_f32_e32 v11, v31, v10
	v_mul_f32_e32 v10, v30, v10
	v_add_f32_e32 v8, v12, v8
	v_fma_f32 v11, v30, v9, -v11
	v_fmac_f32_e32 v10, v31, v9
	v_add_f32_e32 v11, v7, v11
	v_add_f32_e32 v12, v8, v10
	ds_read_b128 v[7:10], v13 offset:208
	ds_read2_b64 v[28:31], v25 offset0:64 offset1:96
	s_waitcnt lgkmcnt(0)
	v_mul_f32_e32 v32, v29, v8
	v_mul_f32_e32 v8, v28, v8
	v_fma_f32 v32, v28, v7, -v32
	v_fmac_f32_e32 v8, v29, v7
	v_add_f32_e32 v7, v11, v32
	v_mul_f32_e32 v11, v31, v10
	v_mul_f32_e32 v10, v30, v10
	v_add_f32_e32 v8, v12, v8
	v_fma_f32 v11, v30, v9, -v11
	v_fmac_f32_e32 v10, v31, v9
	v_add_f32_e32 v11, v7, v11
	v_add_f32_e32 v12, v8, v10
	ds_read_b128 v[7:10], v13 offset:224
	ds_read2_b64 v[28:31], v25 offset0:128 offset1:160
	s_waitcnt lgkmcnt(0)
	v_mul_f32_e32 v32, v29, v8
	v_mul_f32_e32 v8, v28, v8
	v_fma_f32 v32, v28, v7, -v32
	v_fmac_f32_e32 v8, v29, v7
	v_add_f32_e32 v7, v11, v32
	v_mul_f32_e32 v11, v31, v10
	v_mul_f32_e32 v10, v30, v10
	v_add_f32_e32 v8, v12, v8
	v_fma_f32 v11, v30, v9, -v11
	v_fmac_f32_e32 v10, v31, v9
	v_add_f32_e32 v11, v7, v11
	v_add_f32_e32 v12, v8, v10
	ds_read_b128 v[7:10], v13 offset:240
	ds_read2_b64 v[28:31], v25 offset0:192 offset1:224
	s_waitcnt lgkmcnt(0)
	v_mul_f32_e32 v32, v29, v8
	v_mul_f32_e32 v8, v28, v8
	v_fma_f32 v32, v28, v7, -v32
	v_fmac_f32_e32 v8, v29, v7
	v_add_f32_e32 v7, v11, v32
	v_mul_f32_e32 v11, v31, v10
	v_mul_f32_e32 v10, v30, v10
	v_add_f32_e32 v8, v12, v8
	v_fma_f32 v11, v30, v9, -v11
	v_fmac_f32_e32 v10, v31, v9
	v_add_f32_e32 v9, v7, v11
	v_add_f32_e32 v10, v8, v10
	v_mul_f32_e32 v8, s11, v9
	v_mul_f32_e32 v7, s11, v10
	v_fmac_f32_e32 v8, s10, v10
	v_fma_f32 v7, s10, v9, -v7
	global_load_dwordx2 v[9:10], v[5:6], off
	s_waitcnt vmcnt(0)
	v_add_f32_e32 v7, v9, v7
	v_add_f32_e32 v8, v10, v8
	global_store_dwordx2 v[5:6], v[7:8], off
	s_branch .LBB24_6
.LBB24_21:
	s_endpgm
	.section	.rodata,"a",@progbits
	.p2align	6, 0x0
	.amdhsa_kernel _ZL24rocblas_symm_hemm_kernelILb1ELb0ELi32EPK19rocblas_complex_numIfES3_PS1_EvbiiT2_T3_lllS6_lllT4_llli
		.amdhsa_group_segment_fixed_size 16384
		.amdhsa_private_segment_fixed_size 0
		.amdhsa_kernarg_size 384
		.amdhsa_user_sgpr_count 6
		.amdhsa_user_sgpr_private_segment_buffer 1
		.amdhsa_user_sgpr_dispatch_ptr 0
		.amdhsa_user_sgpr_queue_ptr 0
		.amdhsa_user_sgpr_kernarg_segment_ptr 1
		.amdhsa_user_sgpr_dispatch_id 0
		.amdhsa_user_sgpr_flat_scratch_init 0
		.amdhsa_user_sgpr_private_segment_size 0
		.amdhsa_wavefront_size32 1
		.amdhsa_uses_dynamic_stack 0
		.amdhsa_system_sgpr_private_segment_wavefront_offset 0
		.amdhsa_system_sgpr_workgroup_id_x 1
		.amdhsa_system_sgpr_workgroup_id_y 1
		.amdhsa_system_sgpr_workgroup_id_z 1
		.amdhsa_system_sgpr_workgroup_info 0
		.amdhsa_system_vgpr_workitem_id 1
		.amdhsa_next_free_vgpr 44
		.amdhsa_next_free_sgpr 44
		.amdhsa_reserve_vcc 1
		.amdhsa_reserve_flat_scratch 0
		.amdhsa_float_round_mode_32 0
		.amdhsa_float_round_mode_16_64 0
		.amdhsa_float_denorm_mode_32 3
		.amdhsa_float_denorm_mode_16_64 3
		.amdhsa_dx10_clamp 1
		.amdhsa_ieee_mode 1
		.amdhsa_fp16_overflow 0
		.amdhsa_workgroup_processor_mode 1
		.amdhsa_memory_ordered 1
		.amdhsa_forward_progress 1
		.amdhsa_shared_vgpr_count 0
		.amdhsa_exception_fp_ieee_invalid_op 0
		.amdhsa_exception_fp_denorm_src 0
		.amdhsa_exception_fp_ieee_div_zero 0
		.amdhsa_exception_fp_ieee_overflow 0
		.amdhsa_exception_fp_ieee_underflow 0
		.amdhsa_exception_fp_ieee_inexact 0
		.amdhsa_exception_int_div_zero 0
	.end_amdhsa_kernel
	.section	.text._ZL24rocblas_symm_hemm_kernelILb1ELb0ELi32EPK19rocblas_complex_numIfES3_PS1_EvbiiT2_T3_lllS6_lllT4_llli,"axG",@progbits,_ZL24rocblas_symm_hemm_kernelILb1ELb0ELi32EPK19rocblas_complex_numIfES3_PS1_EvbiiT2_T3_lllS6_lllT4_llli,comdat
.Lfunc_end24:
	.size	_ZL24rocblas_symm_hemm_kernelILb1ELb0ELi32EPK19rocblas_complex_numIfES3_PS1_EvbiiT2_T3_lllS6_lllT4_llli, .Lfunc_end24-_ZL24rocblas_symm_hemm_kernelILb1ELb0ELi32EPK19rocblas_complex_numIfES3_PS1_EvbiiT2_T3_lllS6_lllT4_llli
                                        ; -- End function
	.set _ZL24rocblas_symm_hemm_kernelILb1ELb0ELi32EPK19rocblas_complex_numIfES3_PS1_EvbiiT2_T3_lllS6_lllT4_llli.num_vgpr, 44
	.set _ZL24rocblas_symm_hemm_kernelILb1ELb0ELi32EPK19rocblas_complex_numIfES3_PS1_EvbiiT2_T3_lllS6_lllT4_llli.num_agpr, 0
	.set _ZL24rocblas_symm_hemm_kernelILb1ELb0ELi32EPK19rocblas_complex_numIfES3_PS1_EvbiiT2_T3_lllS6_lllT4_llli.numbered_sgpr, 44
	.set _ZL24rocblas_symm_hemm_kernelILb1ELb0ELi32EPK19rocblas_complex_numIfES3_PS1_EvbiiT2_T3_lllS6_lllT4_llli.num_named_barrier, 0
	.set _ZL24rocblas_symm_hemm_kernelILb1ELb0ELi32EPK19rocblas_complex_numIfES3_PS1_EvbiiT2_T3_lllS6_lllT4_llli.private_seg_size, 0
	.set _ZL24rocblas_symm_hemm_kernelILb1ELb0ELi32EPK19rocblas_complex_numIfES3_PS1_EvbiiT2_T3_lllS6_lllT4_llli.uses_vcc, 1
	.set _ZL24rocblas_symm_hemm_kernelILb1ELb0ELi32EPK19rocblas_complex_numIfES3_PS1_EvbiiT2_T3_lllS6_lllT4_llli.uses_flat_scratch, 0
	.set _ZL24rocblas_symm_hemm_kernelILb1ELb0ELi32EPK19rocblas_complex_numIfES3_PS1_EvbiiT2_T3_lllS6_lllT4_llli.has_dyn_sized_stack, 0
	.set _ZL24rocblas_symm_hemm_kernelILb1ELb0ELi32EPK19rocblas_complex_numIfES3_PS1_EvbiiT2_T3_lllS6_lllT4_llli.has_recursion, 0
	.set _ZL24rocblas_symm_hemm_kernelILb1ELb0ELi32EPK19rocblas_complex_numIfES3_PS1_EvbiiT2_T3_lllS6_lllT4_llli.has_indirect_call, 0
	.section	.AMDGPU.csdata,"",@progbits
; Kernel info:
; codeLenInByte = 2304
; TotalNumSgprs: 46
; NumVgprs: 44
; ScratchSize: 0
; MemoryBound: 0
; FloatMode: 240
; IeeeMode: 1
; LDSByteSize: 16384 bytes/workgroup (compile time only)
; SGPRBlocks: 0
; VGPRBlocks: 5
; NumSGPRsForWavesPerEU: 46
; NumVGPRsForWavesPerEU: 44
; Occupancy: 16
; WaveLimiterHint : 0
; COMPUTE_PGM_RSRC2:SCRATCH_EN: 0
; COMPUTE_PGM_RSRC2:USER_SGPR: 6
; COMPUTE_PGM_RSRC2:TRAP_HANDLER: 0
; COMPUTE_PGM_RSRC2:TGID_X_EN: 1
; COMPUTE_PGM_RSRC2:TGID_Y_EN: 1
; COMPUTE_PGM_RSRC2:TGID_Z_EN: 1
; COMPUTE_PGM_RSRC2:TIDIG_COMP_CNT: 1
	.section	.text._ZL24rocblas_symm_hemm_kernelILb1ELb1ELi32EPK19rocblas_complex_numIfES3_PS1_EvbiiT2_T3_lllS6_lllT4_llli,"axG",@progbits,_ZL24rocblas_symm_hemm_kernelILb1ELb1ELi32EPK19rocblas_complex_numIfES3_PS1_EvbiiT2_T3_lllS6_lllT4_llli,comdat
	.globl	_ZL24rocblas_symm_hemm_kernelILb1ELb1ELi32EPK19rocblas_complex_numIfES3_PS1_EvbiiT2_T3_lllS6_lllT4_llli ; -- Begin function _ZL24rocblas_symm_hemm_kernelILb1ELb1ELi32EPK19rocblas_complex_numIfES3_PS1_EvbiiT2_T3_lllS6_lllT4_llli
	.p2align	8
	.type	_ZL24rocblas_symm_hemm_kernelILb1ELb1ELi32EPK19rocblas_complex_numIfES3_PS1_EvbiiT2_T3_lllS6_lllT4_llli,@function
_ZL24rocblas_symm_hemm_kernelILb1ELb1ELi32EPK19rocblas_complex_numIfES3_PS1_EvbiiT2_T3_lllS6_lllT4_llli: ; @_ZL24rocblas_symm_hemm_kernelILb1ELb1ELi32EPK19rocblas_complex_numIfES3_PS1_EvbiiT2_T3_lllS6_lllT4_llli
; %bb.0:
	s_load_dwordx16 s[12:27], s[4:5], 0x10
	s_waitcnt lgkmcnt(0)
	s_load_dwordx2 s[10:11], s[12:13], 0x0
	s_waitcnt lgkmcnt(0)
	v_cmp_eq_f32_e64 s0, s10, 0
	v_cmp_eq_f32_e64 s1, s11, 0
	s_and_b32 s0, s0, s1
	s_and_b32 vcc_lo, exec_lo, s0
	s_cbranch_vccnz .LBB25_21
; %bb.1:
	s_load_dwordx4 s[28:31], s[4:5], 0x0
	s_waitcnt lgkmcnt(0)
	s_add_i32 s0, s30, -1
	s_ashr_i32 s1, s0, 31
	s_lshr_b32 s1, s1, 27
	s_add_i32 s0, s0, s1
	s_ashr_i32 s3, s0, 5
	s_cmp_gt_i32 s7, s3
	s_cbranch_scc1 .LBB25_21
; %bb.2:
	s_clause 0x1
	s_load_dwordx2 s[12:13], s[4:5], 0x70
	s_load_dwordx8 s[36:43], s[4:5], 0x50
	s_mul_i32 s1, s21, s8
	s_mul_hi_u32 s2, s20, s8
	s_mul_i32 s0, s20, s8
	s_add_i32 s1, s2, s1
	v_lshl_add_u32 v2, s6, 5, v0
	s_lshl_b64 s[0:1], s[0:1], 3
	s_load_dword s4, s[4:5], 0x84
	s_add_u32 s2, s14, s0
	s_addc_u32 s9, s15, s1
	s_lshl_b64 s[0:1], s[16:17], 3
	v_ashrrev_i32_e32 v3, 31, v2
	s_add_u32 s6, s2, s0
	s_addc_u32 s9, s9, s1
	s_bitcmp1_b32 s28, 0
	v_lshlrev_b32_e32 v5, 3, v1
	s_cselect_b32 s0, -1, 0
	v_lshlrev_b64 v[3:4], 3, v[2:3]
	v_lshlrev_b32_e32 v12, 8, v0
	s_waitcnt lgkmcnt(0)
	s_mul_i32 s1, s13, s8
	s_mul_hi_u32 s2, s12, s8
	s_mul_i32 s12, s12, s8
	s_add_i32 s13, s2, s1
	s_mul_i32 s1, s37, s8
	s_lshl_b64 s[12:13], s[12:13], 3
	s_mul_hi_u32 s2, s36, s8
	s_add_u32 s5, s38, s12
	s_addc_u32 s15, s39, s13
	s_lshl_b64 s[12:13], s[40:41], 3
	s_mul_i32 s14, s36, s8
	s_add_u32 s5, s5, s12
	s_addc_u32 s8, s15, s13
	s_add_i32 s15, s2, s1
	v_or_b32_e32 v13, 0x2000, v5
	s_lshl_b64 s[12:13], s[14:15], 3
	v_add_nc_u32_e32 v16, v12, v5
	s_add_u32 s1, s22, s12
	s_addc_u32 s2, s23, s13
	s_lshl_b64 s[12:13], s[24:25], 3
	v_add_nc_u32_e32 v17, v13, v12
	s_add_u32 s12, s1, s12
	v_cmp_gt_i32_e64 s1, s29, v2
	v_lshl_add_u32 v2, s7, 5, v1
	s_addc_u32 s2, s2, s13
	v_add_co_u32 v14, vcc_lo, s12, v3
	v_add_co_ci_u32_e64 v15, null, s2, v4, vcc_lo
	v_add_co_u32 v18, vcc_lo, s5, v3
	v_add_co_ci_u32_e64 v19, null, s8, v4, vcc_lo
	v_sub_nc_u32_e32 v20, 0, v2
	v_add_nc_u32_e32 v21, 0x800, v13
	v_add_nc_u32_e32 v22, 0x1000, v13
	;; [unrolled: 1-line block ×3, first 2 shown]
	s_cmp_gt_i32 s30, 0
	s_cselect_b32 s5, -1, 0
	s_lshl_b32 s8, s4, 5
	s_branch .LBB25_4
.LBB25_3:                               ;   in Loop: Header=BB25_4 Depth=1
	v_subrev_nc_u32_e32 v20, s8, v20
	s_add_i32 s7, s7, s4
	s_cmp_gt_i32 s7, s3
	s_cbranch_scc1 .LBB25_21
.LBB25_4:                               ; =>This Loop Header: Depth=1
                                        ;     Child Loop BB25_7 Depth 2
	s_andn2_b32 vcc_lo, exec_lo, s5
	s_cbranch_vccnz .LBB25_3
; %bb.5:                                ;   in Loop: Header=BB25_4 Depth=1
	v_lshl_add_u32 v2, s7, 5, v1
	v_add_nc_u32_e32 v28, v0, v20
	s_mov_b32 s13, 0
	v_ashrrev_i32_e32 v3, 31, v2
	v_mul_lo_u32 v8, s19, v2
	v_mad_u64_u32 v[4:5], null, s18, v2, 0
	v_mul_lo_u32 v10, s43, v2
	v_mul_lo_u32 v9, s18, v3
	v_mad_u64_u32 v[6:7], null, s42, v2, 0
	v_mul_lo_u32 v11, s42, v3
	v_cmp_gt_i32_e32 vcc_lo, s30, v2
	v_add3_u32 v5, v5, v9, v8
	v_lshlrev_b64 v[8:9], 3, v[2:3]
	s_and_b32 s12, s1, vcc_lo
	v_add3_u32 v7, v7, v11, v10
	v_lshlrev_b64 v[3:4], 3, v[4:5]
	v_add_co_u32 v24, s2, s6, v8
	v_lshlrev_b64 v[5:6], 3, v[6:7]
	v_add_co_ci_u32_e64 v25, null, s9, v9, s2
	v_add_co_u32 v26, s2, s6, v3
	v_add_co_ci_u32_e64 v27, null, s9, v4, s2
	v_add_co_u32 v3, s2, v18, v5
	;; [unrolled: 2-line block ×3, first 2 shown]
	v_add_co_ci_u32_e64 v6, null, v27, v9, s2
	s_branch .LBB25_7
.LBB25_6:                               ;   in Loop: Header=BB25_7 Depth=2
	s_or_b32 exec_lo, exec_lo, s2
	s_add_i32 s13, s13, 32
	s_waitcnt_vscnt null, 0x0
	s_cmp_ge_i32 s13, s30
	s_barrier
	buffer_gl0_inv
	s_cbranch_scc1 .LBB25_3
.LBB25_7:                               ;   Parent Loop BB25_4 Depth=1
                                        ; =>  This Inner Loop Header: Depth=2
	v_add_nc_u32_e32 v8, s13, v1
	v_mov_b32_e32 v7, 0
	v_mov_b32_e32 v10, 0
	;; [unrolled: 1-line block ×3, first 2 shown]
	v_cmp_gt_i32_e32 vcc_lo, s30, v8
	s_and_b32 s14, s1, vcc_lo
	s_and_saveexec_b32 s2, s14
	s_cbranch_execz .LBB25_9
; %bb.8:                                ;   in Loop: Header=BB25_7 Depth=2
	v_ashrrev_i32_e32 v10, 31, v8
	v_mul_lo_u32 v11, s27, v8
	v_mad_u64_u32 v[8:9], null, s26, v8, 0
	v_mul_lo_u32 v10, s26, v10
	v_add3_u32 v9, v9, v10, v11
	v_lshlrev_b64 v[8:9], 3, v[8:9]
	v_add_co_u32 v8, vcc_lo, v14, v8
	v_add_co_ci_u32_e64 v9, null, v15, v9, vcc_lo
	global_load_dwordx2 v[10:11], v[8:9], off
.LBB25_9:                               ;   in Loop: Header=BB25_7 Depth=2
	s_or_b32 exec_lo, exec_lo, s2
	v_add_nc_u32_e32 v9, s13, v0
	s_mov_b32 s14, exec_lo
	s_waitcnt vmcnt(0)
	ds_write_b64 v16, v[10:11]
	v_cndmask_b32_e64 v8, v2, v9, s0
	v_cndmask_b32_e64 v29, v9, v2, s0
	v_cmp_gt_i32_e32 vcc_lo, v8, v29
	v_cndmask_b32_e32 v30, v9, v2, vcc_lo
	v_cndmask_b32_e32 v31, v2, v9, vcc_lo
	v_cmp_le_i32_e32 vcc_lo, v8, v29
	v_mov_b32_e32 v8, 0
	v_max_i32_e32 v30, v30, v31
	v_cmpx_gt_i32_e64 s30, v30
	s_cbranch_execz .LBB25_19
; %bb.10:                               ;   in Loop: Header=BB25_7 Depth=2
                                        ; implicit-def: $vgpr8
	s_and_saveexec_b32 s2, vcc_lo
	s_xor_b32 s2, exec_lo, s2
	s_cbranch_execz .LBB25_16
; %bb.11:                               ;   in Loop: Header=BB25_7 Depth=2
	v_add_nc_u32_e32 v7, s13, v28
	v_cmp_ne_u32_e32 vcc_lo, 0, v7
                                        ; implicit-def: $vgpr8
	s_and_saveexec_b32 s15, vcc_lo
	s_xor_b32 s15, exec_lo, s15
	s_cbranch_execz .LBB25_13
; %bb.12:                               ;   in Loop: Header=BB25_7 Depth=2
	v_ashrrev_i32_e32 v10, 31, v9
	v_lshlrev_b64 v[7:8], 3, v[9:10]
	v_add_co_u32 v7, vcc_lo, v26, v7
	v_add_co_ci_u32_e64 v8, null, v27, v8, vcc_lo
	global_load_dwordx2 v[7:8], v[7:8], off
.LBB25_13:                              ;   in Loop: Header=BB25_7 Depth=2
	s_andn2_saveexec_b32 s15, s15
	s_cbranch_execz .LBB25_15
; %bb.14:                               ;   in Loop: Header=BB25_7 Depth=2
	global_load_dword v7, v[5:6], off
	s_waitcnt vmcnt(1)
	v_mov_b32_e32 v8, 0
.LBB25_15:                              ;   in Loop: Header=BB25_7 Depth=2
	s_or_b32 exec_lo, exec_lo, s15
                                        ; implicit-def: $vgpr9
.LBB25_16:                              ;   in Loop: Header=BB25_7 Depth=2
	s_andn2_saveexec_b32 s2, s2
	s_cbranch_execz .LBB25_18
; %bb.17:                               ;   in Loop: Header=BB25_7 Depth=2
	v_ashrrev_i32_e32 v10, 31, v9
	v_mul_lo_u32 v11, s19, v9
	s_waitcnt vmcnt(0)
	v_mad_u64_u32 v[7:8], null, s18, v9, 0
	v_mul_lo_u32 v9, s18, v10
	v_add3_u32 v8, v8, v9, v11
	v_lshlrev_b64 v[7:8], 3, v[7:8]
	v_add_co_u32 v7, vcc_lo, v24, v7
	v_add_co_ci_u32_e64 v8, null, v25, v8, vcc_lo
	global_load_dwordx2 v[7:8], v[7:8], off
	s_waitcnt vmcnt(0)
	v_xor_b32_e32 v8, 0x80000000, v8
.LBB25_18:                              ;   in Loop: Header=BB25_7 Depth=2
	s_or_b32 exec_lo, exec_lo, s2
.LBB25_19:                              ;   in Loop: Header=BB25_7 Depth=2
	s_or_b32 exec_lo, exec_lo, s14
	s_waitcnt vmcnt(0)
	ds_write_b64 v17, v[7:8]
	s_waitcnt lgkmcnt(0)
	s_barrier
	buffer_gl0_inv
	s_and_saveexec_b32 s2, s12
	s_cbranch_execz .LBB25_6
; %bb.20:                               ;   in Loop: Header=BB25_7 Depth=2
	ds_read_b128 v[7:10], v12
	ds_read_b128 v[29:32], v12 offset:16
	ds_read_b128 v[33:36], v12 offset:32
	;; [unrolled: 1-line block ×3, first 2 shown]
	ds_read2_b64 v[41:44], v13 offset1:32
	s_waitcnt lgkmcnt(0)
	v_mul_f32_e32 v11, v42, v8
	v_mul_f32_e32 v8, v41, v8
	v_fma_f32 v11, v41, v7, -v11
	v_fmac_f32_e32 v8, v42, v7
	v_add_f32_e32 v7, 0, v11
	v_mul_f32_e32 v11, v44, v10
	v_mul_f32_e32 v10, v43, v10
	v_add_f32_e32 v8, 0, v8
	v_fma_f32 v11, v43, v9, -v11
	v_fmac_f32_e32 v10, v44, v9
	v_add_f32_e32 v11, v7, v11
	v_add_f32_e32 v41, v8, v10
	ds_read2_b64 v[7:10], v13 offset0:64 offset1:96
	s_waitcnt lgkmcnt(0)
	v_mul_f32_e32 v42, v8, v30
	v_fma_f32 v42, v7, v29, -v42
	v_mul_f32_e32 v7, v7, v30
	v_fmac_f32_e32 v7, v8, v29
	v_add_f32_e32 v8, v11, v42
	v_mul_f32_e32 v11, v10, v32
	v_add_f32_e32 v7, v41, v7
	v_fma_f32 v11, v9, v31, -v11
	v_mul_f32_e32 v9, v9, v32
	v_add_f32_e32 v11, v8, v11
	v_fmac_f32_e32 v9, v10, v31
	v_add_f32_e32 v29, v7, v9
	ds_read2_b64 v[7:10], v13 offset0:128 offset1:160
	s_waitcnt lgkmcnt(0)
	v_mul_f32_e32 v30, v8, v34
	v_fma_f32 v30, v7, v33, -v30
	v_mul_f32_e32 v7, v7, v34
	v_fmac_f32_e32 v7, v8, v33
	v_add_f32_e32 v8, v11, v30
	v_mul_f32_e32 v11, v10, v36
	v_add_f32_e32 v7, v29, v7
	v_fma_f32 v11, v9, v35, -v11
	v_mul_f32_e32 v9, v9, v36
	v_add_f32_e32 v11, v8, v11
	v_fmac_f32_e32 v9, v10, v35
	;; [unrolled: 14-line block ×3, first 2 shown]
	v_add_f32_e32 v33, v7, v9
	ds_read_b128 v[7:10], v12 offset:64
	ds_read2_b64 v[29:32], v21 offset1:32
	s_waitcnt lgkmcnt(0)
	v_mul_f32_e32 v34, v30, v8
	v_mul_f32_e32 v8, v29, v8
	v_fma_f32 v34, v29, v7, -v34
	v_fmac_f32_e32 v8, v30, v7
	v_add_f32_e32 v7, v11, v34
	v_mul_f32_e32 v11, v32, v10
	v_mul_f32_e32 v10, v31, v10
	v_add_f32_e32 v8, v33, v8
	v_fma_f32 v11, v31, v9, -v11
	v_fmac_f32_e32 v10, v32, v9
	v_add_f32_e32 v11, v7, v11
	v_add_f32_e32 v33, v8, v10
	ds_read_b128 v[7:10], v12 offset:80
	ds_read2_b64 v[29:32], v21 offset0:64 offset1:96
	s_waitcnt lgkmcnt(0)
	v_mul_f32_e32 v34, v30, v8
	v_mul_f32_e32 v8, v29, v8
	v_fma_f32 v34, v29, v7, -v34
	v_fmac_f32_e32 v8, v30, v7
	v_add_f32_e32 v7, v11, v34
	v_mul_f32_e32 v11, v32, v10
	v_mul_f32_e32 v10, v31, v10
	v_add_f32_e32 v8, v33, v8
	v_fma_f32 v11, v31, v9, -v11
	v_fmac_f32_e32 v10, v32, v9
	v_add_f32_e32 v11, v7, v11
	v_add_f32_e32 v33, v8, v10
	ds_read_b128 v[7:10], v12 offset:96
	ds_read2_b64 v[29:32], v21 offset0:128 offset1:160
	s_waitcnt lgkmcnt(0)
	v_mul_f32_e32 v34, v30, v8
	v_mul_f32_e32 v8, v29, v8
	v_fma_f32 v34, v29, v7, -v34
	v_fmac_f32_e32 v8, v30, v7
	v_add_f32_e32 v7, v11, v34
	v_mul_f32_e32 v11, v32, v10
	v_mul_f32_e32 v10, v31, v10
	v_add_f32_e32 v8, v33, v8
	v_fma_f32 v11, v31, v9, -v11
	v_fmac_f32_e32 v10, v32, v9
	v_add_f32_e32 v11, v7, v11
	v_add_f32_e32 v33, v8, v10
	ds_read_b128 v[7:10], v12 offset:112
	ds_read2_b64 v[29:32], v21 offset0:192 offset1:224
	s_waitcnt lgkmcnt(0)
	v_mul_f32_e32 v34, v30, v8
	v_mul_f32_e32 v8, v29, v8
	v_fma_f32 v34, v29, v7, -v34
	v_fmac_f32_e32 v8, v30, v7
	v_add_f32_e32 v7, v11, v34
	v_mul_f32_e32 v11, v32, v10
	v_mul_f32_e32 v10, v31, v10
	v_add_f32_e32 v8, v33, v8
	v_fma_f32 v11, v31, v9, -v11
	v_fmac_f32_e32 v10, v32, v9
	v_add_f32_e32 v11, v7, v11
	v_add_f32_e32 v33, v8, v10
	ds_read_b128 v[7:10], v12 offset:128
	ds_read2_b64 v[29:32], v22 offset1:32
	s_waitcnt lgkmcnt(0)
	v_mul_f32_e32 v34, v30, v8
	v_mul_f32_e32 v8, v29, v8
	v_fma_f32 v34, v29, v7, -v34
	v_fmac_f32_e32 v8, v30, v7
	v_add_f32_e32 v7, v11, v34
	v_mul_f32_e32 v11, v32, v10
	v_mul_f32_e32 v10, v31, v10
	v_add_f32_e32 v8, v33, v8
	v_fma_f32 v11, v31, v9, -v11
	v_fmac_f32_e32 v10, v32, v9
	v_add_f32_e32 v11, v7, v11
	v_add_f32_e32 v33, v8, v10
	ds_read_b128 v[7:10], v12 offset:144
	ds_read2_b64 v[29:32], v22 offset0:64 offset1:96
	s_waitcnt lgkmcnt(0)
	v_mul_f32_e32 v34, v30, v8
	v_mul_f32_e32 v8, v29, v8
	v_fma_f32 v34, v29, v7, -v34
	v_fmac_f32_e32 v8, v30, v7
	v_add_f32_e32 v7, v11, v34
	v_mul_f32_e32 v11, v32, v10
	v_mul_f32_e32 v10, v31, v10
	v_add_f32_e32 v8, v33, v8
	v_fma_f32 v11, v31, v9, -v11
	v_fmac_f32_e32 v10, v32, v9
	v_add_f32_e32 v11, v7, v11
	v_add_f32_e32 v33, v8, v10
	ds_read_b128 v[7:10], v12 offset:160
	ds_read2_b64 v[29:32], v22 offset0:128 offset1:160
	s_waitcnt lgkmcnt(0)
	v_mul_f32_e32 v34, v30, v8
	v_mul_f32_e32 v8, v29, v8
	v_fma_f32 v34, v29, v7, -v34
	v_fmac_f32_e32 v8, v30, v7
	v_add_f32_e32 v7, v11, v34
	v_mul_f32_e32 v11, v32, v10
	v_mul_f32_e32 v10, v31, v10
	v_add_f32_e32 v8, v33, v8
	v_fma_f32 v11, v31, v9, -v11
	v_fmac_f32_e32 v10, v32, v9
	v_add_f32_e32 v11, v7, v11
	v_add_f32_e32 v33, v8, v10
	ds_read_b128 v[7:10], v12 offset:176
	ds_read2_b64 v[29:32], v22 offset0:192 offset1:224
	s_waitcnt lgkmcnt(0)
	v_mul_f32_e32 v34, v30, v8
	v_mul_f32_e32 v8, v29, v8
	v_fma_f32 v34, v29, v7, -v34
	v_fmac_f32_e32 v8, v30, v7
	v_add_f32_e32 v7, v11, v34
	v_mul_f32_e32 v11, v32, v10
	v_mul_f32_e32 v10, v31, v10
	v_add_f32_e32 v8, v33, v8
	v_fma_f32 v11, v31, v9, -v11
	v_fmac_f32_e32 v10, v32, v9
	v_add_f32_e32 v11, v7, v11
	;; [unrolled: 60-line block ×3, first 2 shown]
	v_add_f32_e32 v10, v8, v10
	v_mul_f32_e32 v8, s11, v9
	v_mul_f32_e32 v7, s11, v10
	v_fmac_f32_e32 v8, s10, v10
	v_fma_f32 v7, s10, v9, -v7
	global_load_dwordx2 v[9:10], v[3:4], off
	s_waitcnt vmcnt(0)
	v_add_f32_e32 v7, v9, v7
	v_add_f32_e32 v8, v10, v8
	global_store_dwordx2 v[3:4], v[7:8], off
	s_branch .LBB25_6
.LBB25_21:
	s_endpgm
	.section	.rodata,"a",@progbits
	.p2align	6, 0x0
	.amdhsa_kernel _ZL24rocblas_symm_hemm_kernelILb1ELb1ELi32EPK19rocblas_complex_numIfES3_PS1_EvbiiT2_T3_lllS6_lllT4_llli
		.amdhsa_group_segment_fixed_size 16384
		.amdhsa_private_segment_fixed_size 0
		.amdhsa_kernarg_size 384
		.amdhsa_user_sgpr_count 6
		.amdhsa_user_sgpr_private_segment_buffer 1
		.amdhsa_user_sgpr_dispatch_ptr 0
		.amdhsa_user_sgpr_queue_ptr 0
		.amdhsa_user_sgpr_kernarg_segment_ptr 1
		.amdhsa_user_sgpr_dispatch_id 0
		.amdhsa_user_sgpr_flat_scratch_init 0
		.amdhsa_user_sgpr_private_segment_size 0
		.amdhsa_wavefront_size32 1
		.amdhsa_uses_dynamic_stack 0
		.amdhsa_system_sgpr_private_segment_wavefront_offset 0
		.amdhsa_system_sgpr_workgroup_id_x 1
		.amdhsa_system_sgpr_workgroup_id_y 1
		.amdhsa_system_sgpr_workgroup_id_z 1
		.amdhsa_system_sgpr_workgroup_info 0
		.amdhsa_system_vgpr_workitem_id 1
		.amdhsa_next_free_vgpr 45
		.amdhsa_next_free_sgpr 44
		.amdhsa_reserve_vcc 1
		.amdhsa_reserve_flat_scratch 0
		.amdhsa_float_round_mode_32 0
		.amdhsa_float_round_mode_16_64 0
		.amdhsa_float_denorm_mode_32 3
		.amdhsa_float_denorm_mode_16_64 3
		.amdhsa_dx10_clamp 1
		.amdhsa_ieee_mode 1
		.amdhsa_fp16_overflow 0
		.amdhsa_workgroup_processor_mode 1
		.amdhsa_memory_ordered 1
		.amdhsa_forward_progress 1
		.amdhsa_shared_vgpr_count 0
		.amdhsa_exception_fp_ieee_invalid_op 0
		.amdhsa_exception_fp_denorm_src 0
		.amdhsa_exception_fp_ieee_div_zero 0
		.amdhsa_exception_fp_ieee_overflow 0
		.amdhsa_exception_fp_ieee_underflow 0
		.amdhsa_exception_fp_ieee_inexact 0
		.amdhsa_exception_int_div_zero 0
	.end_amdhsa_kernel
	.section	.text._ZL24rocblas_symm_hemm_kernelILb1ELb1ELi32EPK19rocblas_complex_numIfES3_PS1_EvbiiT2_T3_lllS6_lllT4_llli,"axG",@progbits,_ZL24rocblas_symm_hemm_kernelILb1ELb1ELi32EPK19rocblas_complex_numIfES3_PS1_EvbiiT2_T3_lllS6_lllT4_llli,comdat
.Lfunc_end25:
	.size	_ZL24rocblas_symm_hemm_kernelILb1ELb1ELi32EPK19rocblas_complex_numIfES3_PS1_EvbiiT2_T3_lllS6_lllT4_llli, .Lfunc_end25-_ZL24rocblas_symm_hemm_kernelILb1ELb1ELi32EPK19rocblas_complex_numIfES3_PS1_EvbiiT2_T3_lllS6_lllT4_llli
                                        ; -- End function
	.set _ZL24rocblas_symm_hemm_kernelILb1ELb1ELi32EPK19rocblas_complex_numIfES3_PS1_EvbiiT2_T3_lllS6_lllT4_llli.num_vgpr, 45
	.set _ZL24rocblas_symm_hemm_kernelILb1ELb1ELi32EPK19rocblas_complex_numIfES3_PS1_EvbiiT2_T3_lllS6_lllT4_llli.num_agpr, 0
	.set _ZL24rocblas_symm_hemm_kernelILb1ELb1ELi32EPK19rocblas_complex_numIfES3_PS1_EvbiiT2_T3_lllS6_lllT4_llli.numbered_sgpr, 44
	.set _ZL24rocblas_symm_hemm_kernelILb1ELb1ELi32EPK19rocblas_complex_numIfES3_PS1_EvbiiT2_T3_lllS6_lllT4_llli.num_named_barrier, 0
	.set _ZL24rocblas_symm_hemm_kernelILb1ELb1ELi32EPK19rocblas_complex_numIfES3_PS1_EvbiiT2_T3_lllS6_lllT4_llli.private_seg_size, 0
	.set _ZL24rocblas_symm_hemm_kernelILb1ELb1ELi32EPK19rocblas_complex_numIfES3_PS1_EvbiiT2_T3_lllS6_lllT4_llli.uses_vcc, 1
	.set _ZL24rocblas_symm_hemm_kernelILb1ELb1ELi32EPK19rocblas_complex_numIfES3_PS1_EvbiiT2_T3_lllS6_lllT4_llli.uses_flat_scratch, 0
	.set _ZL24rocblas_symm_hemm_kernelILb1ELb1ELi32EPK19rocblas_complex_numIfES3_PS1_EvbiiT2_T3_lllS6_lllT4_llli.has_dyn_sized_stack, 0
	.set _ZL24rocblas_symm_hemm_kernelILb1ELb1ELi32EPK19rocblas_complex_numIfES3_PS1_EvbiiT2_T3_lllS6_lllT4_llli.has_recursion, 0
	.set _ZL24rocblas_symm_hemm_kernelILb1ELb1ELi32EPK19rocblas_complex_numIfES3_PS1_EvbiiT2_T3_lllS6_lllT4_llli.has_indirect_call, 0
	.section	.AMDGPU.csdata,"",@progbits
; Kernel info:
; codeLenInByte = 2308
; TotalNumSgprs: 46
; NumVgprs: 45
; ScratchSize: 0
; MemoryBound: 0
; FloatMode: 240
; IeeeMode: 1
; LDSByteSize: 16384 bytes/workgroup (compile time only)
; SGPRBlocks: 0
; VGPRBlocks: 5
; NumSGPRsForWavesPerEU: 46
; NumVGPRsForWavesPerEU: 45
; Occupancy: 16
; WaveLimiterHint : 0
; COMPUTE_PGM_RSRC2:SCRATCH_EN: 0
; COMPUTE_PGM_RSRC2:USER_SGPR: 6
; COMPUTE_PGM_RSRC2:TRAP_HANDLER: 0
; COMPUTE_PGM_RSRC2:TGID_X_EN: 1
; COMPUTE_PGM_RSRC2:TGID_Y_EN: 1
; COMPUTE_PGM_RSRC2:TGID_Z_EN: 1
; COMPUTE_PGM_RSRC2:TIDIG_COMP_CNT: 1
	.section	.text._ZL24rocblas_symm_hemm_kernelILb1ELb0ELi32E19rocblas_complex_numIfEPKS1_PS1_EvbiiT2_T3_lllS6_lllT4_llli,"axG",@progbits,_ZL24rocblas_symm_hemm_kernelILb1ELb0ELi32E19rocblas_complex_numIfEPKS1_PS1_EvbiiT2_T3_lllS6_lllT4_llli,comdat
	.globl	_ZL24rocblas_symm_hemm_kernelILb1ELb0ELi32E19rocblas_complex_numIfEPKS1_PS1_EvbiiT2_T3_lllS6_lllT4_llli ; -- Begin function _ZL24rocblas_symm_hemm_kernelILb1ELb0ELi32E19rocblas_complex_numIfEPKS1_PS1_EvbiiT2_T3_lllS6_lllT4_llli
	.p2align	8
	.type	_ZL24rocblas_symm_hemm_kernelILb1ELb0ELi32E19rocblas_complex_numIfEPKS1_PS1_EvbiiT2_T3_lllS6_lllT4_llli,@function
_ZL24rocblas_symm_hemm_kernelILb1ELb0ELi32E19rocblas_complex_numIfEPKS1_PS1_EvbiiT2_T3_lllS6_lllT4_llli: ; @_ZL24rocblas_symm_hemm_kernelILb1ELb0ELi32E19rocblas_complex_numIfEPKS1_PS1_EvbiiT2_T3_lllS6_lllT4_llli
; %bb.0:
	s_clause 0x1
	s_load_dwordx4 s[28:31], s[4:5], 0x0
	s_load_dword s9, s[4:5], 0x10
	s_waitcnt lgkmcnt(0)
	v_cmp_eq_f32_e64 s0, s31, 0
	v_cmp_eq_f32_e64 s1, s9, 0
	s_and_b32 s0, s0, s1
	s_and_b32 vcc_lo, exec_lo, s0
	s_cbranch_vccnz .LBB26_21
; %bb.1:
	s_add_i32 s0, s30, -1
	s_ashr_i32 s1, s0, 31
	s_lshr_b32 s1, s1, 27
	s_add_i32 s0, s0, s1
	s_ashr_i32 s10, s0, 5
	s_cmp_gt_i32 s7, s10
	s_cbranch_scc1 .LBB26_21
; %bb.2:
	s_clause 0x1
	s_load_dwordx16 s[12:27], s[4:5], 0x18
	s_load_dwordx8 s[36:43], s[4:5], 0x58
	v_lshl_add_u32 v2, s6, 5, v0
	s_load_dword s4, s[4:5], 0x84
	v_lshlrev_b32_e32 v8, 3, v1
	v_lshlrev_b32_e32 v13, 8, v0
	v_ashrrev_i32_e32 v3, 31, v2
	v_or_b32_e32 v14, 0x2000, v8
	v_add_nc_u32_e32 v19, v13, v8
	v_add_nc_u32_e32 v20, v14, v13
	;; [unrolled: 1-line block ×5, first 2 shown]
	s_waitcnt lgkmcnt(0)
	s_mul_i32 s1, s27, s8
	s_mul_hi_u32 s2, s26, s8
	s_mul_i32 s0, s26, s8
	s_add_i32 s1, s2, s1
	s_mul_i32 s3, s43, s8
	s_lshl_b64 s[0:1], s[0:1], 3
	s_mul_hi_u32 s26, s42, s8
	s_add_u32 s6, s20, s0
	s_addc_u32 s11, s21, s1
	s_lshl_b64 s[0:1], s[22:23], 3
	s_mul_i32 s2, s42, s8
	s_add_u32 s6, s6, s0
	s_addc_u32 s11, s11, s1
	s_bitcmp1_b32 s28, 0
	v_mul_lo_u32 v6, s16, v3
	s_cselect_b32 s0, -1, 0
	s_add_i32 s3, s26, s3
	v_mul_lo_u32 v7, s17, v2
	v_mad_u64_u32 v[4:5], null, s16, v2, 0
	s_lshl_b64 s[2:3], s[2:3], 3
	s_mul_i32 s19, s19, s8
	s_add_u32 s1, s36, s2
	s_addc_u32 s21, s37, s3
	s_lshl_b64 s[2:3], s[38:39], 3
	s_mul_hi_u32 s20, s18, s8
	s_mul_i32 s18, s18, s8
	s_add_u32 s8, s1, s2
	s_addc_u32 s21, s21, s3
	s_add_i32 s19, s20, s19
	v_add3_u32 v5, v5, v6, v7
	s_lshl_b64 s[2:3], s[18:19], 3
	v_lshlrev_b64 v[6:7], 3, v[2:3]
	s_add_u32 s1, s12, s2
	s_addc_u32 s12, s13, s3
	s_lshl_b64 s[2:3], s[14:15], 3
	v_lshlrev_b64 v[3:4], 3, v[4:5]
	s_add_u32 s1, s1, s2
	s_addc_u32 s2, s12, s3
	v_add_co_u32 v15, vcc_lo, s1, v6
	v_add_co_ci_u32_e64 v16, null, s2, v7, vcc_lo
	v_add_co_u32 v17, vcc_lo, s1, v3
	v_add_co_ci_u32_e64 v18, null, s2, v4, vcc_lo
	;; [unrolled: 2-line block ×3, first 2 shown]
	v_add_co_u32 v3, vcc_lo, v15, v3
	v_cmp_gt_i32_e64 s1, s29, v2
	v_add_co_ci_u32_e64 v4, null, v16, v4, vcc_lo
	s_cmp_gt_i32 s29, 0
	s_cselect_b32 s5, -1, 0
	s_branch .LBB26_4
.LBB26_3:                               ;   in Loop: Header=BB26_4 Depth=1
	s_add_i32 s7, s7, s4
	s_cmp_gt_i32 s7, s10
	s_cbranch_scc1 .LBB26_21
.LBB26_4:                               ; =>This Loop Header: Depth=1
                                        ;     Child Loop BB26_7 Depth 2
	s_andn2_b32 vcc_lo, exec_lo, s5
	s_cbranch_vccnz .LBB26_3
; %bb.5:                                ;   in Loop: Header=BB26_4 Depth=1
	v_lshl_add_u32 v9, s7, 5, v1
	s_mov_b32 s12, 0
	v_ashrrev_i32_e32 v10, 31, v9
	v_mul_lo_u32 v11, s25, v9
	v_mad_u64_u32 v[5:6], null, s24, v9, 0
	v_mul_lo_u32 v26, s41, v9
	v_mul_lo_u32 v12, s24, v10
	v_mad_u64_u32 v[7:8], null, s40, v9, 0
	v_mul_lo_u32 v10, s40, v10
	v_cmp_gt_i32_e32 vcc_lo, s30, v9
	v_add3_u32 v6, v6, v12, v11
	s_and_b32 s8, s1, vcc_lo
	v_add3_u32 v8, v8, v10, v26
	v_lshlrev_b64 v[5:6], 3, v[5:6]
	v_lshlrev_b64 v[7:8], 3, v[7:8]
	v_add_co_u32 v26, s2, s6, v5
	v_add_co_ci_u32_e64 v27, null, s11, v6, s2
	v_add_co_u32 v5, s2, v21, v7
	v_add_co_ci_u32_e64 v6, null, v22, v8, s2
	s_branch .LBB26_7
.LBB26_6:                               ;   in Loop: Header=BB26_7 Depth=2
	s_or_b32 exec_lo, exec_lo, s2
	s_add_i32 s12, s12, 32
	s_waitcnt_vscnt null, 0x0
	s_cmp_ge_i32 s12, s29
	s_barrier
	buffer_gl0_inv
	s_cbranch_scc1 .LBB26_3
.LBB26_7:                               ;   Parent Loop BB26_4 Depth=1
                                        ; =>  This Inner Loop Header: Depth=2
	v_add_nc_u32_e32 v8, s12, v1
	s_mov_b32 s13, exec_lo
	v_cndmask_b32_e64 v10, v8, v2, s0
	v_cndmask_b32_e64 v11, v2, v8, s0
	v_cmp_gt_i32_e64 s2, v10, v11
	v_cndmask_b32_e64 v7, v2, v8, s2
	v_cndmask_b32_e64 v9, v8, v2, s2
	v_cmp_le_i32_e64 s2, v10, v11
	v_mov_b32_e32 v10, 0
	v_max_i32_e32 v12, v7, v9
	v_mov_b32_e32 v7, 0
	v_mov_b32_e32 v9, 0
	v_cmpx_gt_i32_e64 s29, v12
	s_cbranch_execz .LBB26_17
; %bb.8:                                ;   in Loop: Header=BB26_7 Depth=2
                                        ; implicit-def: $vgpr10
	s_and_saveexec_b32 s3, s2
	s_xor_b32 s3, exec_lo, s3
	s_cbranch_execz .LBB26_14
; %bb.9:                                ;   in Loop: Header=BB26_7 Depth=2
	s_mov_b32 s14, exec_lo
                                        ; implicit-def: $vgpr10
	v_cmpx_ne_u32_e64 v8, v2
	s_xor_b32 s14, exec_lo, s14
	s_cbranch_execz .LBB26_11
; %bb.10:                               ;   in Loop: Header=BB26_7 Depth=2
	v_ashrrev_i32_e32 v10, 31, v8
	v_mul_lo_u32 v11, s17, v8
	v_mad_u64_u32 v[8:9], null, s16, v8, 0
	v_mul_lo_u32 v10, s16, v10
	v_add3_u32 v9, v9, v10, v11
	v_lshlrev_b64 v[8:9], 3, v[8:9]
	v_add_co_u32 v8, s2, v15, v8
	v_add_co_ci_u32_e64 v9, null, v16, v9, s2
	global_load_dwordx2 v[9:10], v[8:9], off
.LBB26_11:                              ;   in Loop: Header=BB26_7 Depth=2
	s_andn2_saveexec_b32 s2, s14
	s_cbranch_execz .LBB26_13
; %bb.12:                               ;   in Loop: Header=BB26_7 Depth=2
	global_load_dword v9, v[3:4], off
	s_waitcnt vmcnt(1)
	v_mov_b32_e32 v10, 0
.LBB26_13:                              ;   in Loop: Header=BB26_7 Depth=2
	s_or_b32 exec_lo, exec_lo, s2
                                        ; implicit-def: $vgpr8
.LBB26_14:                              ;   in Loop: Header=BB26_7 Depth=2
	s_andn2_saveexec_b32 s3, s3
	s_cbranch_execz .LBB26_16
; %bb.15:                               ;   in Loop: Header=BB26_7 Depth=2
	s_waitcnt vmcnt(0)
	v_ashrrev_i32_e32 v9, 31, v8
	v_lshlrev_b64 v[8:9], 3, v[8:9]
	v_add_co_u32 v8, s2, v17, v8
	v_add_co_ci_u32_e64 v9, null, v18, v9, s2
	global_load_dwordx2 v[9:10], v[8:9], off
	s_waitcnt vmcnt(0)
	v_xor_b32_e32 v10, 0x80000000, v10
.LBB26_16:                              ;   in Loop: Header=BB26_7 Depth=2
	s_or_b32 exec_lo, exec_lo, s3
.LBB26_17:                              ;   in Loop: Header=BB26_7 Depth=2
	s_or_b32 exec_lo, exec_lo, s13
	v_add_nc_u32_e32 v11, s12, v0
	v_mov_b32_e32 v8, 0
	s_waitcnt vmcnt(0)
	ds_write_b64 v19, v[9:10]
	v_cmp_gt_i32_e64 s2, s29, v11
	s_and_b32 s2, s2, vcc_lo
	s_and_saveexec_b32 s3, s2
	s_cbranch_execz .LBB26_19
; %bb.18:                               ;   in Loop: Header=BB26_7 Depth=2
	v_ashrrev_i32_e32 v12, 31, v11
	v_lshlrev_b64 v[7:8], 3, v[11:12]
	v_add_co_u32 v7, s2, v26, v7
	v_add_co_ci_u32_e64 v8, null, v27, v8, s2
	global_load_dwordx2 v[7:8], v[7:8], off
.LBB26_19:                              ;   in Loop: Header=BB26_7 Depth=2
	s_or_b32 exec_lo, exec_lo, s3
	s_waitcnt vmcnt(0)
	ds_write_b64 v20, v[7:8]
	s_waitcnt lgkmcnt(0)
	s_barrier
	buffer_gl0_inv
	s_and_saveexec_b32 s2, s8
	s_cbranch_execz .LBB26_6
; %bb.20:                               ;   in Loop: Header=BB26_7 Depth=2
	ds_read_b128 v[7:10], v13
	ds_read_b128 v[28:31], v13 offset:16
	ds_read_b128 v[32:35], v13 offset:32
	;; [unrolled: 1-line block ×3, first 2 shown]
	ds_read2_b64 v[40:43], v14 offset1:32
	s_waitcnt lgkmcnt(0)
	v_mul_f32_e32 v11, v41, v8
	v_mul_f32_e32 v8, v40, v8
	v_fma_f32 v11, v40, v7, -v11
	v_fmac_f32_e32 v8, v41, v7
	v_add_f32_e32 v7, 0, v11
	v_mul_f32_e32 v11, v43, v10
	v_mul_f32_e32 v10, v42, v10
	v_add_f32_e32 v8, 0, v8
	v_fma_f32 v11, v42, v9, -v11
	v_fmac_f32_e32 v10, v43, v9
	v_add_f32_e32 v11, v7, v11
	v_add_f32_e32 v12, v8, v10
	ds_read2_b64 v[7:10], v14 offset0:64 offset1:96
	s_waitcnt lgkmcnt(0)
	v_mul_f32_e32 v40, v8, v29
	v_fma_f32 v40, v7, v28, -v40
	v_mul_f32_e32 v7, v7, v29
	v_fmac_f32_e32 v7, v8, v28
	v_add_f32_e32 v8, v11, v40
	v_mul_f32_e32 v11, v10, v31
	v_add_f32_e32 v7, v12, v7
	v_fma_f32 v11, v9, v30, -v11
	v_mul_f32_e32 v9, v9, v31
	v_add_f32_e32 v11, v8, v11
	v_fmac_f32_e32 v9, v10, v30
	v_add_f32_e32 v12, v7, v9
	ds_read2_b64 v[7:10], v14 offset0:128 offset1:160
	s_waitcnt lgkmcnt(0)
	v_mul_f32_e32 v28, v8, v33
	v_fma_f32 v28, v7, v32, -v28
	v_mul_f32_e32 v7, v7, v33
	v_fmac_f32_e32 v7, v8, v32
	v_add_f32_e32 v8, v11, v28
	v_mul_f32_e32 v11, v10, v35
	v_add_f32_e32 v7, v12, v7
	v_fma_f32 v11, v9, v34, -v11
	v_mul_f32_e32 v9, v9, v35
	v_add_f32_e32 v11, v8, v11
	v_fmac_f32_e32 v9, v10, v34
	;; [unrolled: 14-line block ×3, first 2 shown]
	v_add_f32_e32 v12, v7, v9
	ds_read_b128 v[7:10], v13 offset:64
	ds_read2_b64 v[28:31], v23 offset1:32
	s_waitcnt lgkmcnt(0)
	v_mul_f32_e32 v32, v29, v8
	v_mul_f32_e32 v8, v28, v8
	v_fma_f32 v32, v28, v7, -v32
	v_fmac_f32_e32 v8, v29, v7
	v_add_f32_e32 v7, v11, v32
	v_mul_f32_e32 v11, v31, v10
	v_mul_f32_e32 v10, v30, v10
	v_add_f32_e32 v8, v12, v8
	v_fma_f32 v11, v30, v9, -v11
	v_fmac_f32_e32 v10, v31, v9
	v_add_f32_e32 v11, v7, v11
	v_add_f32_e32 v12, v8, v10
	ds_read_b128 v[7:10], v13 offset:80
	ds_read2_b64 v[28:31], v23 offset0:64 offset1:96
	s_waitcnt lgkmcnt(0)
	v_mul_f32_e32 v32, v29, v8
	v_mul_f32_e32 v8, v28, v8
	v_fma_f32 v32, v28, v7, -v32
	v_fmac_f32_e32 v8, v29, v7
	v_add_f32_e32 v7, v11, v32
	v_mul_f32_e32 v11, v31, v10
	v_mul_f32_e32 v10, v30, v10
	v_add_f32_e32 v8, v12, v8
	v_fma_f32 v11, v30, v9, -v11
	v_fmac_f32_e32 v10, v31, v9
	v_add_f32_e32 v11, v7, v11
	v_add_f32_e32 v12, v8, v10
	ds_read_b128 v[7:10], v13 offset:96
	ds_read2_b64 v[28:31], v23 offset0:128 offset1:160
	s_waitcnt lgkmcnt(0)
	v_mul_f32_e32 v32, v29, v8
	v_mul_f32_e32 v8, v28, v8
	v_fma_f32 v32, v28, v7, -v32
	v_fmac_f32_e32 v8, v29, v7
	v_add_f32_e32 v7, v11, v32
	v_mul_f32_e32 v11, v31, v10
	v_mul_f32_e32 v10, v30, v10
	v_add_f32_e32 v8, v12, v8
	v_fma_f32 v11, v30, v9, -v11
	v_fmac_f32_e32 v10, v31, v9
	v_add_f32_e32 v11, v7, v11
	v_add_f32_e32 v12, v8, v10
	ds_read_b128 v[7:10], v13 offset:112
	ds_read2_b64 v[28:31], v23 offset0:192 offset1:224
	s_waitcnt lgkmcnt(0)
	v_mul_f32_e32 v32, v29, v8
	v_mul_f32_e32 v8, v28, v8
	v_fma_f32 v32, v28, v7, -v32
	v_fmac_f32_e32 v8, v29, v7
	v_add_f32_e32 v7, v11, v32
	v_mul_f32_e32 v11, v31, v10
	v_mul_f32_e32 v10, v30, v10
	v_add_f32_e32 v8, v12, v8
	v_fma_f32 v11, v30, v9, -v11
	v_fmac_f32_e32 v10, v31, v9
	v_add_f32_e32 v11, v7, v11
	v_add_f32_e32 v12, v8, v10
	ds_read_b128 v[7:10], v13 offset:128
	ds_read2_b64 v[28:31], v24 offset1:32
	s_waitcnt lgkmcnt(0)
	v_mul_f32_e32 v32, v29, v8
	v_mul_f32_e32 v8, v28, v8
	v_fma_f32 v32, v28, v7, -v32
	v_fmac_f32_e32 v8, v29, v7
	v_add_f32_e32 v7, v11, v32
	v_mul_f32_e32 v11, v31, v10
	v_mul_f32_e32 v10, v30, v10
	v_add_f32_e32 v8, v12, v8
	v_fma_f32 v11, v30, v9, -v11
	v_fmac_f32_e32 v10, v31, v9
	v_add_f32_e32 v11, v7, v11
	v_add_f32_e32 v12, v8, v10
	ds_read_b128 v[7:10], v13 offset:144
	ds_read2_b64 v[28:31], v24 offset0:64 offset1:96
	s_waitcnt lgkmcnt(0)
	v_mul_f32_e32 v32, v29, v8
	v_mul_f32_e32 v8, v28, v8
	v_fma_f32 v32, v28, v7, -v32
	v_fmac_f32_e32 v8, v29, v7
	v_add_f32_e32 v7, v11, v32
	v_mul_f32_e32 v11, v31, v10
	v_mul_f32_e32 v10, v30, v10
	v_add_f32_e32 v8, v12, v8
	v_fma_f32 v11, v30, v9, -v11
	v_fmac_f32_e32 v10, v31, v9
	v_add_f32_e32 v11, v7, v11
	v_add_f32_e32 v12, v8, v10
	ds_read_b128 v[7:10], v13 offset:160
	ds_read2_b64 v[28:31], v24 offset0:128 offset1:160
	s_waitcnt lgkmcnt(0)
	v_mul_f32_e32 v32, v29, v8
	v_mul_f32_e32 v8, v28, v8
	v_fma_f32 v32, v28, v7, -v32
	v_fmac_f32_e32 v8, v29, v7
	v_add_f32_e32 v7, v11, v32
	v_mul_f32_e32 v11, v31, v10
	v_mul_f32_e32 v10, v30, v10
	v_add_f32_e32 v8, v12, v8
	v_fma_f32 v11, v30, v9, -v11
	v_fmac_f32_e32 v10, v31, v9
	v_add_f32_e32 v11, v7, v11
	v_add_f32_e32 v12, v8, v10
	ds_read_b128 v[7:10], v13 offset:176
	ds_read2_b64 v[28:31], v24 offset0:192 offset1:224
	s_waitcnt lgkmcnt(0)
	v_mul_f32_e32 v32, v29, v8
	v_mul_f32_e32 v8, v28, v8
	v_fma_f32 v32, v28, v7, -v32
	v_fmac_f32_e32 v8, v29, v7
	v_add_f32_e32 v7, v11, v32
	v_mul_f32_e32 v11, v31, v10
	v_mul_f32_e32 v10, v30, v10
	v_add_f32_e32 v8, v12, v8
	v_fma_f32 v11, v30, v9, -v11
	v_fmac_f32_e32 v10, v31, v9
	v_add_f32_e32 v11, v7, v11
	;; [unrolled: 60-line block ×3, first 2 shown]
	v_add_f32_e32 v10, v8, v10
	v_mul_f32_e32 v8, s9, v9
	v_mul_f32_e32 v7, s9, v10
	v_fmac_f32_e32 v8, s31, v10
	v_fma_f32 v7, s31, v9, -v7
	global_load_dwordx2 v[9:10], v[5:6], off
	s_waitcnt vmcnt(0)
	v_add_f32_e32 v7, v9, v7
	v_add_f32_e32 v8, v10, v8
	global_store_dwordx2 v[5:6], v[7:8], off
	s_branch .LBB26_6
.LBB26_21:
	s_endpgm
	.section	.rodata,"a",@progbits
	.p2align	6, 0x0
	.amdhsa_kernel _ZL24rocblas_symm_hemm_kernelILb1ELb0ELi32E19rocblas_complex_numIfEPKS1_PS1_EvbiiT2_T3_lllS6_lllT4_llli
		.amdhsa_group_segment_fixed_size 16384
		.amdhsa_private_segment_fixed_size 0
		.amdhsa_kernarg_size 384
		.amdhsa_user_sgpr_count 6
		.amdhsa_user_sgpr_private_segment_buffer 1
		.amdhsa_user_sgpr_dispatch_ptr 0
		.amdhsa_user_sgpr_queue_ptr 0
		.amdhsa_user_sgpr_kernarg_segment_ptr 1
		.amdhsa_user_sgpr_dispatch_id 0
		.amdhsa_user_sgpr_flat_scratch_init 0
		.amdhsa_user_sgpr_private_segment_size 0
		.amdhsa_wavefront_size32 1
		.amdhsa_uses_dynamic_stack 0
		.amdhsa_system_sgpr_private_segment_wavefront_offset 0
		.amdhsa_system_sgpr_workgroup_id_x 1
		.amdhsa_system_sgpr_workgroup_id_y 1
		.amdhsa_system_sgpr_workgroup_id_z 1
		.amdhsa_system_sgpr_workgroup_info 0
		.amdhsa_system_vgpr_workitem_id 1
		.amdhsa_next_free_vgpr 44
		.amdhsa_next_free_sgpr 44
		.amdhsa_reserve_vcc 1
		.amdhsa_reserve_flat_scratch 0
		.amdhsa_float_round_mode_32 0
		.amdhsa_float_round_mode_16_64 0
		.amdhsa_float_denorm_mode_32 3
		.amdhsa_float_denorm_mode_16_64 3
		.amdhsa_dx10_clamp 1
		.amdhsa_ieee_mode 1
		.amdhsa_fp16_overflow 0
		.amdhsa_workgroup_processor_mode 1
		.amdhsa_memory_ordered 1
		.amdhsa_forward_progress 1
		.amdhsa_shared_vgpr_count 0
		.amdhsa_exception_fp_ieee_invalid_op 0
		.amdhsa_exception_fp_denorm_src 0
		.amdhsa_exception_fp_ieee_div_zero 0
		.amdhsa_exception_fp_ieee_overflow 0
		.amdhsa_exception_fp_ieee_underflow 0
		.amdhsa_exception_fp_ieee_inexact 0
		.amdhsa_exception_int_div_zero 0
	.end_amdhsa_kernel
	.section	.text._ZL24rocblas_symm_hemm_kernelILb1ELb0ELi32E19rocblas_complex_numIfEPKS1_PS1_EvbiiT2_T3_lllS6_lllT4_llli,"axG",@progbits,_ZL24rocblas_symm_hemm_kernelILb1ELb0ELi32E19rocblas_complex_numIfEPKS1_PS1_EvbiiT2_T3_lllS6_lllT4_llli,comdat
.Lfunc_end26:
	.size	_ZL24rocblas_symm_hemm_kernelILb1ELb0ELi32E19rocblas_complex_numIfEPKS1_PS1_EvbiiT2_T3_lllS6_lllT4_llli, .Lfunc_end26-_ZL24rocblas_symm_hemm_kernelILb1ELb0ELi32E19rocblas_complex_numIfEPKS1_PS1_EvbiiT2_T3_lllS6_lllT4_llli
                                        ; -- End function
	.set _ZL24rocblas_symm_hemm_kernelILb1ELb0ELi32E19rocblas_complex_numIfEPKS1_PS1_EvbiiT2_T3_lllS6_lllT4_llli.num_vgpr, 44
	.set _ZL24rocblas_symm_hemm_kernelILb1ELb0ELi32E19rocblas_complex_numIfEPKS1_PS1_EvbiiT2_T3_lllS6_lllT4_llli.num_agpr, 0
	.set _ZL24rocblas_symm_hemm_kernelILb1ELb0ELi32E19rocblas_complex_numIfEPKS1_PS1_EvbiiT2_T3_lllS6_lllT4_llli.numbered_sgpr, 44
	.set _ZL24rocblas_symm_hemm_kernelILb1ELb0ELi32E19rocblas_complex_numIfEPKS1_PS1_EvbiiT2_T3_lllS6_lllT4_llli.num_named_barrier, 0
	.set _ZL24rocblas_symm_hemm_kernelILb1ELb0ELi32E19rocblas_complex_numIfEPKS1_PS1_EvbiiT2_T3_lllS6_lllT4_llli.private_seg_size, 0
	.set _ZL24rocblas_symm_hemm_kernelILb1ELb0ELi32E19rocblas_complex_numIfEPKS1_PS1_EvbiiT2_T3_lllS6_lllT4_llli.uses_vcc, 1
	.set _ZL24rocblas_symm_hemm_kernelILb1ELb0ELi32E19rocblas_complex_numIfEPKS1_PS1_EvbiiT2_T3_lllS6_lllT4_llli.uses_flat_scratch, 0
	.set _ZL24rocblas_symm_hemm_kernelILb1ELb0ELi32E19rocblas_complex_numIfEPKS1_PS1_EvbiiT2_T3_lllS6_lllT4_llli.has_dyn_sized_stack, 0
	.set _ZL24rocblas_symm_hemm_kernelILb1ELb0ELi32E19rocblas_complex_numIfEPKS1_PS1_EvbiiT2_T3_lllS6_lllT4_llli.has_recursion, 0
	.set _ZL24rocblas_symm_hemm_kernelILb1ELb0ELi32E19rocblas_complex_numIfEPKS1_PS1_EvbiiT2_T3_lllS6_lllT4_llli.has_indirect_call, 0
	.section	.AMDGPU.csdata,"",@progbits
; Kernel info:
; codeLenInByte = 2292
; TotalNumSgprs: 46
; NumVgprs: 44
; ScratchSize: 0
; MemoryBound: 0
; FloatMode: 240
; IeeeMode: 1
; LDSByteSize: 16384 bytes/workgroup (compile time only)
; SGPRBlocks: 0
; VGPRBlocks: 5
; NumSGPRsForWavesPerEU: 46
; NumVGPRsForWavesPerEU: 44
; Occupancy: 16
; WaveLimiterHint : 0
; COMPUTE_PGM_RSRC2:SCRATCH_EN: 0
; COMPUTE_PGM_RSRC2:USER_SGPR: 6
; COMPUTE_PGM_RSRC2:TRAP_HANDLER: 0
; COMPUTE_PGM_RSRC2:TGID_X_EN: 1
; COMPUTE_PGM_RSRC2:TGID_Y_EN: 1
; COMPUTE_PGM_RSRC2:TGID_Z_EN: 1
; COMPUTE_PGM_RSRC2:TIDIG_COMP_CNT: 1
	.section	.text._ZL24rocblas_symm_hemm_kernelILb1ELb1ELi32E19rocblas_complex_numIfEPKS1_PS1_EvbiiT2_T3_lllS6_lllT4_llli,"axG",@progbits,_ZL24rocblas_symm_hemm_kernelILb1ELb1ELi32E19rocblas_complex_numIfEPKS1_PS1_EvbiiT2_T3_lllS6_lllT4_llli,comdat
	.globl	_ZL24rocblas_symm_hemm_kernelILb1ELb1ELi32E19rocblas_complex_numIfEPKS1_PS1_EvbiiT2_T3_lllS6_lllT4_llli ; -- Begin function _ZL24rocblas_symm_hemm_kernelILb1ELb1ELi32E19rocblas_complex_numIfEPKS1_PS1_EvbiiT2_T3_lllS6_lllT4_llli
	.p2align	8
	.type	_ZL24rocblas_symm_hemm_kernelILb1ELb1ELi32E19rocblas_complex_numIfEPKS1_PS1_EvbiiT2_T3_lllS6_lllT4_llli,@function
_ZL24rocblas_symm_hemm_kernelILb1ELb1ELi32E19rocblas_complex_numIfEPKS1_PS1_EvbiiT2_T3_lllS6_lllT4_llli: ; @_ZL24rocblas_symm_hemm_kernelILb1ELb1ELi32E19rocblas_complex_numIfEPKS1_PS1_EvbiiT2_T3_lllS6_lllT4_llli
; %bb.0:
	s_clause 0x1
	s_load_dwordx4 s[28:31], s[4:5], 0x0
	s_load_dword s3, s[4:5], 0x10
	s_waitcnt lgkmcnt(0)
	v_cmp_eq_f32_e64 s0, s31, 0
	v_cmp_eq_f32_e64 s1, s3, 0
	s_and_b32 s0, s0, s1
	s_and_b32 vcc_lo, exec_lo, s0
	s_cbranch_vccnz .LBB27_21
; %bb.1:
	s_add_i32 s0, s30, -1
	s_ashr_i32 s1, s0, 31
	s_lshr_b32 s1, s1, 27
	s_add_i32 s0, s0, s1
	s_ashr_i32 s9, s0, 5
	s_cmp_gt_i32 s7, s9
	s_cbranch_scc1 .LBB27_21
; %bb.2:
	s_clause 0x1
	s_load_dwordx16 s[12:27], s[4:5], 0x18
	s_load_dwordx8 s[36:43], s[4:5], 0x58
	v_lshl_add_u32 v2, s6, 5, v0
	s_load_dword s4, s[4:5], 0x84
	v_lshlrev_b32_e32 v4, 3, v1
	v_lshlrev_b32_e32 v12, 8, v0
	v_lshl_add_u32 v5, s7, 5, v1
	v_ashrrev_i32_e32 v3, 31, v2
	v_cmp_gt_i32_e64 s0, s29, v2
	v_or_b32_e32 v14, 0x2000, v4
	v_add_nc_u32_e32 v13, v12, v4
	v_sub_nc_u32_e32 v20, 0, v5
	v_lshlrev_b64 v[2:3], 3, v[2:3]
	v_add_nc_u32_e32 v15, v14, v12
	v_add_nc_u32_e32 v21, 0x800, v14
	;; [unrolled: 1-line block ×4, first 2 shown]
	s_waitcnt lgkmcnt(0)
	s_mul_i32 s1, s19, s8
	s_mul_hi_u32 s2, s18, s8
	s_mul_i32 s10, s18, s8
	s_add_i32 s11, s2, s1
	s_mul_i32 s2, s43, s8
	s_lshl_b64 s[10:11], s[10:11], 3
	s_add_u32 s1, s12, s10
	s_addc_u32 s6, s13, s11
	s_lshl_b64 s[10:11], s[14:15], 3
	s_mul_hi_u32 s12, s42, s8
	s_add_u32 s5, s1, s10
	s_addc_u32 s6, s6, s11
	s_bitcmp1_b32 s28, 0
	s_mul_i32 s10, s42, s8
	s_cselect_b32 s1, -1, 0
	s_add_i32 s11, s12, s2
	s_mul_i32 s2, s27, s8
	s_lshl_b64 s[10:11], s[10:11], 3
	s_mul_hi_u32 s13, s26, s8
	s_add_u32 s14, s36, s10
	s_addc_u32 s15, s37, s11
	s_lshl_b64 s[10:11], s[38:39], 3
	s_mul_i32 s12, s26, s8
	s_add_u32 s8, s14, s10
	s_addc_u32 s14, s15, s11
	s_add_i32 s13, s13, s2
	s_lshl_b64 s[10:11], s[12:13], 3
	s_add_u32 s2, s20, s10
	s_addc_u32 s12, s21, s11
	s_lshl_b64 s[10:11], s[22:23], 3
	s_add_u32 s2, s2, s10
	s_addc_u32 s10, s12, s11
	v_add_co_u32 v16, vcc_lo, s2, v2
	v_add_co_ci_u32_e64 v17, null, s10, v3, vcc_lo
	v_add_co_u32 v18, vcc_lo, s8, v2
	v_add_co_ci_u32_e64 v19, null, s14, v3, vcc_lo
	s_cmp_gt_i32 s30, 0
	s_cselect_b32 s8, -1, 0
	s_lshl_b32 s10, s4, 5
	s_branch .LBB27_4
.LBB27_3:                               ;   in Loop: Header=BB27_4 Depth=1
	v_subrev_nc_u32_e32 v20, s10, v20
	s_add_i32 s7, s7, s4
	s_cmp_gt_i32 s7, s9
	s_cbranch_scc1 .LBB27_21
.LBB27_4:                               ; =>This Loop Header: Depth=1
                                        ;     Child Loop BB27_7 Depth 2
	s_andn2_b32 vcc_lo, exec_lo, s8
	s_cbranch_vccnz .LBB27_3
; %bb.5:                                ;   in Loop: Header=BB27_4 Depth=1
	v_lshl_add_u32 v2, s7, 5, v1
	v_add_nc_u32_e32 v28, v0, v20
	s_mov_b32 s12, 0
	v_ashrrev_i32_e32 v3, 31, v2
	v_mul_lo_u32 v8, s17, v2
	v_mad_u64_u32 v[4:5], null, s16, v2, 0
	v_mul_lo_u32 v10, s41, v2
	v_mul_lo_u32 v9, s16, v3
	v_mad_u64_u32 v[6:7], null, s40, v2, 0
	v_mul_lo_u32 v11, s40, v3
	v_cmp_gt_i32_e32 vcc_lo, s30, v2
	v_add3_u32 v5, v5, v9, v8
	v_lshlrev_b64 v[8:9], 3, v[2:3]
	s_and_b32 s11, s0, vcc_lo
	v_add3_u32 v7, v7, v11, v10
	v_lshlrev_b64 v[3:4], 3, v[4:5]
	v_add_co_u32 v24, s2, s5, v8
	v_lshlrev_b64 v[5:6], 3, v[6:7]
	v_add_co_ci_u32_e64 v25, null, s6, v9, s2
	v_add_co_u32 v26, s2, s5, v3
	v_add_co_ci_u32_e64 v27, null, s6, v4, s2
	v_add_co_u32 v3, s2, v18, v5
	;; [unrolled: 2-line block ×3, first 2 shown]
	v_add_co_ci_u32_e64 v6, null, v27, v9, s2
	s_branch .LBB27_7
.LBB27_6:                               ;   in Loop: Header=BB27_7 Depth=2
	s_or_b32 exec_lo, exec_lo, s2
	s_add_i32 s12, s12, 32
	s_waitcnt_vscnt null, 0x0
	s_cmp_ge_i32 s12, s30
	s_barrier
	buffer_gl0_inv
	s_cbranch_scc1 .LBB27_3
.LBB27_7:                               ;   Parent Loop BB27_4 Depth=1
                                        ; =>  This Inner Loop Header: Depth=2
	v_add_nc_u32_e32 v8, s12, v1
	v_mov_b32_e32 v7, 0
	v_mov_b32_e32 v10, 0
	;; [unrolled: 1-line block ×3, first 2 shown]
	v_cmp_gt_i32_e32 vcc_lo, s30, v8
	s_and_b32 s13, s0, vcc_lo
	s_and_saveexec_b32 s2, s13
	s_cbranch_execz .LBB27_9
; %bb.8:                                ;   in Loop: Header=BB27_7 Depth=2
	v_ashrrev_i32_e32 v10, 31, v8
	v_mul_lo_u32 v11, s25, v8
	v_mad_u64_u32 v[8:9], null, s24, v8, 0
	v_mul_lo_u32 v10, s24, v10
	v_add3_u32 v9, v9, v10, v11
	v_lshlrev_b64 v[8:9], 3, v[8:9]
	v_add_co_u32 v8, vcc_lo, v16, v8
	v_add_co_ci_u32_e64 v9, null, v17, v9, vcc_lo
	global_load_dwordx2 v[10:11], v[8:9], off
.LBB27_9:                               ;   in Loop: Header=BB27_7 Depth=2
	s_or_b32 exec_lo, exec_lo, s2
	v_add_nc_u32_e32 v9, s12, v0
	s_mov_b32 s13, exec_lo
	s_waitcnt vmcnt(0)
	ds_write_b64 v13, v[10:11]
	v_cndmask_b32_e64 v8, v2, v9, s1
	v_cndmask_b32_e64 v29, v9, v2, s1
	v_cmp_gt_i32_e32 vcc_lo, v8, v29
	v_cndmask_b32_e32 v30, v9, v2, vcc_lo
	v_cndmask_b32_e32 v31, v2, v9, vcc_lo
	v_cmp_le_i32_e32 vcc_lo, v8, v29
	v_mov_b32_e32 v8, 0
	v_max_i32_e32 v30, v30, v31
	v_cmpx_gt_i32_e64 s30, v30
	s_cbranch_execz .LBB27_19
; %bb.10:                               ;   in Loop: Header=BB27_7 Depth=2
                                        ; implicit-def: $vgpr8
	s_and_saveexec_b32 s2, vcc_lo
	s_xor_b32 s2, exec_lo, s2
	s_cbranch_execz .LBB27_16
; %bb.11:                               ;   in Loop: Header=BB27_7 Depth=2
	v_add_nc_u32_e32 v7, s12, v28
	v_cmp_ne_u32_e32 vcc_lo, 0, v7
                                        ; implicit-def: $vgpr8
	s_and_saveexec_b32 s14, vcc_lo
	s_xor_b32 s14, exec_lo, s14
	s_cbranch_execz .LBB27_13
; %bb.12:                               ;   in Loop: Header=BB27_7 Depth=2
	v_ashrrev_i32_e32 v10, 31, v9
	v_lshlrev_b64 v[7:8], 3, v[9:10]
	v_add_co_u32 v7, vcc_lo, v26, v7
	v_add_co_ci_u32_e64 v8, null, v27, v8, vcc_lo
	global_load_dwordx2 v[7:8], v[7:8], off
.LBB27_13:                              ;   in Loop: Header=BB27_7 Depth=2
	s_andn2_saveexec_b32 s14, s14
	s_cbranch_execz .LBB27_15
; %bb.14:                               ;   in Loop: Header=BB27_7 Depth=2
	global_load_dword v7, v[5:6], off
	s_waitcnt vmcnt(1)
	v_mov_b32_e32 v8, 0
.LBB27_15:                              ;   in Loop: Header=BB27_7 Depth=2
	s_or_b32 exec_lo, exec_lo, s14
                                        ; implicit-def: $vgpr9
.LBB27_16:                              ;   in Loop: Header=BB27_7 Depth=2
	s_andn2_saveexec_b32 s2, s2
	s_cbranch_execz .LBB27_18
; %bb.17:                               ;   in Loop: Header=BB27_7 Depth=2
	v_ashrrev_i32_e32 v10, 31, v9
	v_mul_lo_u32 v11, s17, v9
	s_waitcnt vmcnt(0)
	v_mad_u64_u32 v[7:8], null, s16, v9, 0
	v_mul_lo_u32 v9, s16, v10
	v_add3_u32 v8, v8, v9, v11
	v_lshlrev_b64 v[7:8], 3, v[7:8]
	v_add_co_u32 v7, vcc_lo, v24, v7
	v_add_co_ci_u32_e64 v8, null, v25, v8, vcc_lo
	global_load_dwordx2 v[7:8], v[7:8], off
	s_waitcnt vmcnt(0)
	v_xor_b32_e32 v8, 0x80000000, v8
.LBB27_18:                              ;   in Loop: Header=BB27_7 Depth=2
	s_or_b32 exec_lo, exec_lo, s2
.LBB27_19:                              ;   in Loop: Header=BB27_7 Depth=2
	s_or_b32 exec_lo, exec_lo, s13
	s_waitcnt vmcnt(0)
	ds_write_b64 v15, v[7:8]
	s_waitcnt lgkmcnt(0)
	s_barrier
	buffer_gl0_inv
	s_and_saveexec_b32 s2, s11
	s_cbranch_execz .LBB27_6
; %bb.20:                               ;   in Loop: Header=BB27_7 Depth=2
	ds_read_b128 v[7:10], v12
	ds_read_b128 v[29:32], v12 offset:16
	ds_read_b128 v[33:36], v12 offset:32
	;; [unrolled: 1-line block ×3, first 2 shown]
	ds_read2_b64 v[41:44], v14 offset1:32
	s_waitcnt lgkmcnt(0)
	v_mul_f32_e32 v11, v42, v8
	v_mul_f32_e32 v8, v41, v8
	v_fma_f32 v11, v41, v7, -v11
	v_fmac_f32_e32 v8, v42, v7
	v_add_f32_e32 v7, 0, v11
	v_mul_f32_e32 v11, v44, v10
	v_mul_f32_e32 v10, v43, v10
	v_add_f32_e32 v8, 0, v8
	v_fma_f32 v11, v43, v9, -v11
	v_fmac_f32_e32 v10, v44, v9
	v_add_f32_e32 v11, v7, v11
	v_add_f32_e32 v41, v8, v10
	ds_read2_b64 v[7:10], v14 offset0:64 offset1:96
	s_waitcnt lgkmcnt(0)
	v_mul_f32_e32 v42, v8, v30
	v_fma_f32 v42, v7, v29, -v42
	v_mul_f32_e32 v7, v7, v30
	v_fmac_f32_e32 v7, v8, v29
	v_add_f32_e32 v8, v11, v42
	v_mul_f32_e32 v11, v10, v32
	v_add_f32_e32 v7, v41, v7
	v_fma_f32 v11, v9, v31, -v11
	v_mul_f32_e32 v9, v9, v32
	v_add_f32_e32 v11, v8, v11
	v_fmac_f32_e32 v9, v10, v31
	v_add_f32_e32 v29, v7, v9
	ds_read2_b64 v[7:10], v14 offset0:128 offset1:160
	s_waitcnt lgkmcnt(0)
	v_mul_f32_e32 v30, v8, v34
	v_fma_f32 v30, v7, v33, -v30
	v_mul_f32_e32 v7, v7, v34
	v_fmac_f32_e32 v7, v8, v33
	v_add_f32_e32 v8, v11, v30
	v_mul_f32_e32 v11, v10, v36
	v_add_f32_e32 v7, v29, v7
	v_fma_f32 v11, v9, v35, -v11
	v_mul_f32_e32 v9, v9, v36
	v_add_f32_e32 v11, v8, v11
	v_fmac_f32_e32 v9, v10, v35
	;; [unrolled: 14-line block ×3, first 2 shown]
	v_add_f32_e32 v33, v7, v9
	ds_read_b128 v[7:10], v12 offset:64
	ds_read2_b64 v[29:32], v21 offset1:32
	s_waitcnt lgkmcnt(0)
	v_mul_f32_e32 v34, v30, v8
	v_mul_f32_e32 v8, v29, v8
	v_fma_f32 v34, v29, v7, -v34
	v_fmac_f32_e32 v8, v30, v7
	v_add_f32_e32 v7, v11, v34
	v_mul_f32_e32 v11, v32, v10
	v_mul_f32_e32 v10, v31, v10
	v_add_f32_e32 v8, v33, v8
	v_fma_f32 v11, v31, v9, -v11
	v_fmac_f32_e32 v10, v32, v9
	v_add_f32_e32 v11, v7, v11
	v_add_f32_e32 v33, v8, v10
	ds_read_b128 v[7:10], v12 offset:80
	ds_read2_b64 v[29:32], v21 offset0:64 offset1:96
	s_waitcnt lgkmcnt(0)
	v_mul_f32_e32 v34, v30, v8
	v_mul_f32_e32 v8, v29, v8
	v_fma_f32 v34, v29, v7, -v34
	v_fmac_f32_e32 v8, v30, v7
	v_add_f32_e32 v7, v11, v34
	v_mul_f32_e32 v11, v32, v10
	v_mul_f32_e32 v10, v31, v10
	v_add_f32_e32 v8, v33, v8
	v_fma_f32 v11, v31, v9, -v11
	v_fmac_f32_e32 v10, v32, v9
	v_add_f32_e32 v11, v7, v11
	v_add_f32_e32 v33, v8, v10
	ds_read_b128 v[7:10], v12 offset:96
	ds_read2_b64 v[29:32], v21 offset0:128 offset1:160
	s_waitcnt lgkmcnt(0)
	v_mul_f32_e32 v34, v30, v8
	v_mul_f32_e32 v8, v29, v8
	v_fma_f32 v34, v29, v7, -v34
	v_fmac_f32_e32 v8, v30, v7
	v_add_f32_e32 v7, v11, v34
	v_mul_f32_e32 v11, v32, v10
	v_mul_f32_e32 v10, v31, v10
	v_add_f32_e32 v8, v33, v8
	v_fma_f32 v11, v31, v9, -v11
	v_fmac_f32_e32 v10, v32, v9
	v_add_f32_e32 v11, v7, v11
	v_add_f32_e32 v33, v8, v10
	ds_read_b128 v[7:10], v12 offset:112
	ds_read2_b64 v[29:32], v21 offset0:192 offset1:224
	s_waitcnt lgkmcnt(0)
	v_mul_f32_e32 v34, v30, v8
	v_mul_f32_e32 v8, v29, v8
	v_fma_f32 v34, v29, v7, -v34
	v_fmac_f32_e32 v8, v30, v7
	v_add_f32_e32 v7, v11, v34
	v_mul_f32_e32 v11, v32, v10
	v_mul_f32_e32 v10, v31, v10
	v_add_f32_e32 v8, v33, v8
	v_fma_f32 v11, v31, v9, -v11
	v_fmac_f32_e32 v10, v32, v9
	v_add_f32_e32 v11, v7, v11
	v_add_f32_e32 v33, v8, v10
	ds_read_b128 v[7:10], v12 offset:128
	ds_read2_b64 v[29:32], v22 offset1:32
	s_waitcnt lgkmcnt(0)
	v_mul_f32_e32 v34, v30, v8
	v_mul_f32_e32 v8, v29, v8
	v_fma_f32 v34, v29, v7, -v34
	v_fmac_f32_e32 v8, v30, v7
	v_add_f32_e32 v7, v11, v34
	v_mul_f32_e32 v11, v32, v10
	v_mul_f32_e32 v10, v31, v10
	v_add_f32_e32 v8, v33, v8
	v_fma_f32 v11, v31, v9, -v11
	v_fmac_f32_e32 v10, v32, v9
	v_add_f32_e32 v11, v7, v11
	v_add_f32_e32 v33, v8, v10
	ds_read_b128 v[7:10], v12 offset:144
	ds_read2_b64 v[29:32], v22 offset0:64 offset1:96
	s_waitcnt lgkmcnt(0)
	v_mul_f32_e32 v34, v30, v8
	v_mul_f32_e32 v8, v29, v8
	v_fma_f32 v34, v29, v7, -v34
	v_fmac_f32_e32 v8, v30, v7
	v_add_f32_e32 v7, v11, v34
	v_mul_f32_e32 v11, v32, v10
	v_mul_f32_e32 v10, v31, v10
	v_add_f32_e32 v8, v33, v8
	v_fma_f32 v11, v31, v9, -v11
	v_fmac_f32_e32 v10, v32, v9
	v_add_f32_e32 v11, v7, v11
	v_add_f32_e32 v33, v8, v10
	ds_read_b128 v[7:10], v12 offset:160
	ds_read2_b64 v[29:32], v22 offset0:128 offset1:160
	s_waitcnt lgkmcnt(0)
	v_mul_f32_e32 v34, v30, v8
	v_mul_f32_e32 v8, v29, v8
	v_fma_f32 v34, v29, v7, -v34
	v_fmac_f32_e32 v8, v30, v7
	v_add_f32_e32 v7, v11, v34
	v_mul_f32_e32 v11, v32, v10
	v_mul_f32_e32 v10, v31, v10
	v_add_f32_e32 v8, v33, v8
	v_fma_f32 v11, v31, v9, -v11
	v_fmac_f32_e32 v10, v32, v9
	v_add_f32_e32 v11, v7, v11
	v_add_f32_e32 v33, v8, v10
	ds_read_b128 v[7:10], v12 offset:176
	ds_read2_b64 v[29:32], v22 offset0:192 offset1:224
	s_waitcnt lgkmcnt(0)
	v_mul_f32_e32 v34, v30, v8
	v_mul_f32_e32 v8, v29, v8
	v_fma_f32 v34, v29, v7, -v34
	v_fmac_f32_e32 v8, v30, v7
	v_add_f32_e32 v7, v11, v34
	v_mul_f32_e32 v11, v32, v10
	v_mul_f32_e32 v10, v31, v10
	v_add_f32_e32 v8, v33, v8
	v_fma_f32 v11, v31, v9, -v11
	v_fmac_f32_e32 v10, v32, v9
	v_add_f32_e32 v11, v7, v11
	;; [unrolled: 60-line block ×3, first 2 shown]
	v_add_f32_e32 v10, v8, v10
	v_mul_f32_e32 v8, s3, v9
	v_mul_f32_e32 v7, s3, v10
	v_fmac_f32_e32 v8, s31, v10
	v_fma_f32 v7, s31, v9, -v7
	global_load_dwordx2 v[9:10], v[3:4], off
	s_waitcnt vmcnt(0)
	v_add_f32_e32 v7, v9, v7
	v_add_f32_e32 v8, v10, v8
	global_store_dwordx2 v[3:4], v[7:8], off
	s_branch .LBB27_6
.LBB27_21:
	s_endpgm
	.section	.rodata,"a",@progbits
	.p2align	6, 0x0
	.amdhsa_kernel _ZL24rocblas_symm_hemm_kernelILb1ELb1ELi32E19rocblas_complex_numIfEPKS1_PS1_EvbiiT2_T3_lllS6_lllT4_llli
		.amdhsa_group_segment_fixed_size 16384
		.amdhsa_private_segment_fixed_size 0
		.amdhsa_kernarg_size 384
		.amdhsa_user_sgpr_count 6
		.amdhsa_user_sgpr_private_segment_buffer 1
		.amdhsa_user_sgpr_dispatch_ptr 0
		.amdhsa_user_sgpr_queue_ptr 0
		.amdhsa_user_sgpr_kernarg_segment_ptr 1
		.amdhsa_user_sgpr_dispatch_id 0
		.amdhsa_user_sgpr_flat_scratch_init 0
		.amdhsa_user_sgpr_private_segment_size 0
		.amdhsa_wavefront_size32 1
		.amdhsa_uses_dynamic_stack 0
		.amdhsa_system_sgpr_private_segment_wavefront_offset 0
		.amdhsa_system_sgpr_workgroup_id_x 1
		.amdhsa_system_sgpr_workgroup_id_y 1
		.amdhsa_system_sgpr_workgroup_id_z 1
		.amdhsa_system_sgpr_workgroup_info 0
		.amdhsa_system_vgpr_workitem_id 1
		.amdhsa_next_free_vgpr 45
		.amdhsa_next_free_sgpr 44
		.amdhsa_reserve_vcc 1
		.amdhsa_reserve_flat_scratch 0
		.amdhsa_float_round_mode_32 0
		.amdhsa_float_round_mode_16_64 0
		.amdhsa_float_denorm_mode_32 3
		.amdhsa_float_denorm_mode_16_64 3
		.amdhsa_dx10_clamp 1
		.amdhsa_ieee_mode 1
		.amdhsa_fp16_overflow 0
		.amdhsa_workgroup_processor_mode 1
		.amdhsa_memory_ordered 1
		.amdhsa_forward_progress 1
		.amdhsa_shared_vgpr_count 0
		.amdhsa_exception_fp_ieee_invalid_op 0
		.amdhsa_exception_fp_denorm_src 0
		.amdhsa_exception_fp_ieee_div_zero 0
		.amdhsa_exception_fp_ieee_overflow 0
		.amdhsa_exception_fp_ieee_underflow 0
		.amdhsa_exception_fp_ieee_inexact 0
		.amdhsa_exception_int_div_zero 0
	.end_amdhsa_kernel
	.section	.text._ZL24rocblas_symm_hemm_kernelILb1ELb1ELi32E19rocblas_complex_numIfEPKS1_PS1_EvbiiT2_T3_lllS6_lllT4_llli,"axG",@progbits,_ZL24rocblas_symm_hemm_kernelILb1ELb1ELi32E19rocblas_complex_numIfEPKS1_PS1_EvbiiT2_T3_lllS6_lllT4_llli,comdat
.Lfunc_end27:
	.size	_ZL24rocblas_symm_hemm_kernelILb1ELb1ELi32E19rocblas_complex_numIfEPKS1_PS1_EvbiiT2_T3_lllS6_lllT4_llli, .Lfunc_end27-_ZL24rocblas_symm_hemm_kernelILb1ELb1ELi32E19rocblas_complex_numIfEPKS1_PS1_EvbiiT2_T3_lllS6_lllT4_llli
                                        ; -- End function
	.set _ZL24rocblas_symm_hemm_kernelILb1ELb1ELi32E19rocblas_complex_numIfEPKS1_PS1_EvbiiT2_T3_lllS6_lllT4_llli.num_vgpr, 45
	.set _ZL24rocblas_symm_hemm_kernelILb1ELb1ELi32E19rocblas_complex_numIfEPKS1_PS1_EvbiiT2_T3_lllS6_lllT4_llli.num_agpr, 0
	.set _ZL24rocblas_symm_hemm_kernelILb1ELb1ELi32E19rocblas_complex_numIfEPKS1_PS1_EvbiiT2_T3_lllS6_lllT4_llli.numbered_sgpr, 44
	.set _ZL24rocblas_symm_hemm_kernelILb1ELb1ELi32E19rocblas_complex_numIfEPKS1_PS1_EvbiiT2_T3_lllS6_lllT4_llli.num_named_barrier, 0
	.set _ZL24rocblas_symm_hemm_kernelILb1ELb1ELi32E19rocblas_complex_numIfEPKS1_PS1_EvbiiT2_T3_lllS6_lllT4_llli.private_seg_size, 0
	.set _ZL24rocblas_symm_hemm_kernelILb1ELb1ELi32E19rocblas_complex_numIfEPKS1_PS1_EvbiiT2_T3_lllS6_lllT4_llli.uses_vcc, 1
	.set _ZL24rocblas_symm_hemm_kernelILb1ELb1ELi32E19rocblas_complex_numIfEPKS1_PS1_EvbiiT2_T3_lllS6_lllT4_llli.uses_flat_scratch, 0
	.set _ZL24rocblas_symm_hemm_kernelILb1ELb1ELi32E19rocblas_complex_numIfEPKS1_PS1_EvbiiT2_T3_lllS6_lllT4_llli.has_dyn_sized_stack, 0
	.set _ZL24rocblas_symm_hemm_kernelILb1ELb1ELi32E19rocblas_complex_numIfEPKS1_PS1_EvbiiT2_T3_lllS6_lllT4_llli.has_recursion, 0
	.set _ZL24rocblas_symm_hemm_kernelILb1ELb1ELi32E19rocblas_complex_numIfEPKS1_PS1_EvbiiT2_T3_lllS6_lllT4_llli.has_indirect_call, 0
	.section	.AMDGPU.csdata,"",@progbits
; Kernel info:
; codeLenInByte = 2296
; TotalNumSgprs: 46
; NumVgprs: 45
; ScratchSize: 0
; MemoryBound: 0
; FloatMode: 240
; IeeeMode: 1
; LDSByteSize: 16384 bytes/workgroup (compile time only)
; SGPRBlocks: 0
; VGPRBlocks: 5
; NumSGPRsForWavesPerEU: 46
; NumVGPRsForWavesPerEU: 45
; Occupancy: 16
; WaveLimiterHint : 0
; COMPUTE_PGM_RSRC2:SCRATCH_EN: 0
; COMPUTE_PGM_RSRC2:USER_SGPR: 6
; COMPUTE_PGM_RSRC2:TRAP_HANDLER: 0
; COMPUTE_PGM_RSRC2:TGID_X_EN: 1
; COMPUTE_PGM_RSRC2:TGID_Y_EN: 1
; COMPUTE_PGM_RSRC2:TGID_Z_EN: 1
; COMPUTE_PGM_RSRC2:TIDIG_COMP_CNT: 1
	.section	.text._ZL24rocblas_symm_hemm_kernelILb1ELb0ELi32EPK19rocblas_complex_numIdES3_PS1_EvbiiT2_T3_lllS6_lllT4_llli,"axG",@progbits,_ZL24rocblas_symm_hemm_kernelILb1ELb0ELi32EPK19rocblas_complex_numIdES3_PS1_EvbiiT2_T3_lllS6_lllT4_llli,comdat
	.globl	_ZL24rocblas_symm_hemm_kernelILb1ELb0ELi32EPK19rocblas_complex_numIdES3_PS1_EvbiiT2_T3_lllS6_lllT4_llli ; -- Begin function _ZL24rocblas_symm_hemm_kernelILb1ELb0ELi32EPK19rocblas_complex_numIdES3_PS1_EvbiiT2_T3_lllS6_lllT4_llli
	.p2align	8
	.type	_ZL24rocblas_symm_hemm_kernelILb1ELb0ELi32EPK19rocblas_complex_numIdES3_PS1_EvbiiT2_T3_lllS6_lllT4_llli,@function
_ZL24rocblas_symm_hemm_kernelILb1ELb0ELi32EPK19rocblas_complex_numIdES3_PS1_EvbiiT2_T3_lllS6_lllT4_llli: ; @_ZL24rocblas_symm_hemm_kernelILb1ELb0ELi32EPK19rocblas_complex_numIdES3_PS1_EvbiiT2_T3_lllS6_lllT4_llli
; %bb.0:
	s_load_dwordx16 s[12:27], s[4:5], 0x10
	s_waitcnt lgkmcnt(0)
	s_load_dwordx4 s[28:31], s[12:13], 0x0
	s_waitcnt lgkmcnt(0)
	v_cmp_eq_f64_e64 s0, s[28:29], 0
	v_cmp_eq_f64_e64 s1, s[30:31], 0
	s_and_b32 s0, s0, s1
	s_and_b32 vcc_lo, exec_lo, s0
	s_cbranch_vccnz .LBB28_23
; %bb.1:
	s_load_dwordx4 s[44:47], s[4:5], 0x0
	s_waitcnt lgkmcnt(0)
	s_add_i32 s0, s46, -1
	s_ashr_i32 s1, s0, 31
	s_lshr_b32 s1, s1, 27
	s_add_i32 s0, s0, s1
	s_ashr_i32 s9, s0, 5
	s_cmp_gt_i32 s7, s9
	s_cbranch_scc1 .LBB28_23
; %bb.2:
	s_clause 0x1
	s_load_dwordx8 s[36:43], s[4:5], 0x50
	s_load_dwordx2 s[0:1], s[4:5], 0x70
	v_lshl_add_u32 v10, s6, 5, v0
	s_load_dword s4, s[4:5], 0x84
	s_mul_i32 s3, s21, s8
	s_mul_hi_u32 s12, s20, s8
	s_mul_i32 s2, s20, s8
	v_ashrrev_i32_e32 v11, 31, v10
	v_mul_lo_u32 v4, s19, v10
	v_mad_u64_u32 v[2:3], null, s18, v10, 0
	v_lshlrev_b32_e32 v6, 4, v1
	v_mul_lo_u32 v5, s18, v11
	v_lshlrev_b32_e32 v17, 9, v0
	v_or_b32_e32 v18, 0x4000, v6
	v_add_nc_u32_e32 v23, v17, v6
	v_add3_u32 v3, v3, v5, v4
	s_waitcnt lgkmcnt(0)
	s_mul_i32 s5, s37, s8
	s_mul_hi_u32 s6, s36, s8
	s_mul_i32 s10, s36, s8
	s_add_i32 s11, s6, s5
	s_mul_i32 s1, s1, s8
	s_lshl_b64 s[10:11], s[10:11], 4
	s_mul_hi_u32 s13, s0, s8
	s_add_u32 s5, s22, s10
	s_addc_u32 s6, s23, s11
	s_lshl_b64 s[10:11], s[24:25], 4
	v_lshlrev_b64 v[4:5], 4, v[10:11]
	s_add_u32 s5, s5, s10
	s_addc_u32 s6, s6, s11
	s_bitcmp1_b32 s44, 0
	s_mul_i32 s10, s0, s8
	s_cselect_b32 s0, -1, 0
	s_add_i32 s11, s13, s1
	v_lshlrev_b64 v[2:3], 4, v[2:3]
	s_lshl_b64 s[10:11], s[10:11], 4
	v_add_nc_u32_e32 v24, v18, v17
	s_add_u32 s1, s38, s10
	s_addc_u32 s8, s39, s11
	s_lshl_b64 s[10:11], s[40:41], 4
	s_add_u32 s10, s1, s10
	s_addc_u32 s8, s8, s11
	s_add_i32 s3, s12, s3
	s_lshl_b64 s[2:3], s[2:3], 4
	s_add_u32 s1, s14, s2
	s_addc_u32 s11, s15, s3
	s_lshl_b64 s[2:3], s[16:17], 4
	s_add_u32 s1, s1, s2
	s_addc_u32 s2, s11, s3
	v_add_co_u32 v19, vcc_lo, s1, v4
	v_add_co_ci_u32_e64 v20, null, s2, v5, vcc_lo
	v_add_co_u32 v21, vcc_lo, s1, v2
	v_add_co_ci_u32_e64 v22, null, s2, v3, vcc_lo
	;; [unrolled: 2-line block ×3, first 2 shown]
	v_add_co_u32 v11, vcc_lo, v19, v2
	v_cmp_gt_i32_e64 s1, s45, v10
	v_add_co_ci_u32_e64 v12, null, v20, v3, vcc_lo
	s_cmp_gt_i32 s45, 0
	s_cselect_b32 s8, -1, 0
	s_branch .LBB28_4
.LBB28_3:                               ;   in Loop: Header=BB28_4 Depth=1
	s_add_i32 s7, s7, s4
	s_cmp_gt_i32 s7, s9
	s_cbranch_scc1 .LBB28_23
.LBB28_4:                               ; =>This Loop Header: Depth=1
                                        ;     Child Loop BB28_7 Depth 2
                                        ;       Child Loop BB28_21 Depth 3
	s_andn2_b32 vcc_lo, exec_lo, s8
	s_cbranch_vccnz .LBB28_3
; %bb.5:                                ;   in Loop: Header=BB28_4 Depth=1
	v_lshl_add_u32 v6, s7, 5, v1
	s_mov_b32 s11, 0
	v_ashrrev_i32_e32 v7, 31, v6
	v_mul_lo_u32 v8, s27, v6
	v_mad_u64_u32 v[2:3], null, s26, v6, 0
	v_mul_lo_u32 v13, s43, v6
	v_mul_lo_u32 v9, s26, v7
	v_mad_u64_u32 v[4:5], null, s42, v6, 0
	v_mul_lo_u32 v7, s42, v7
	v_cmp_gt_i32_e32 vcc_lo, s46, v6
	v_add3_u32 v3, v3, v9, v8
	s_and_b32 s10, s1, vcc_lo
	v_add3_u32 v5, v5, v7, v13
	v_lshlrev_b64 v[2:3], 4, v[2:3]
	v_lshlrev_b64 v[4:5], 4, v[4:5]
	v_add_co_u32 v27, s2, s5, v2
	v_add_co_ci_u32_e64 v28, null, s6, v3, s2
	v_add_co_u32 v13, s2, v25, v4
	v_add_co_ci_u32_e64 v14, null, v26, v5, s2
	s_branch .LBB28_7
.LBB28_6:                               ;   in Loop: Header=BB28_7 Depth=2
	s_or_b32 exec_lo, exec_lo, s2
	s_add_i32 s11, s11, 32
	s_waitcnt_vscnt null, 0x0
	s_cmp_ge_i32 s11, s45
	s_barrier
	buffer_gl0_inv
	s_cbranch_scc1 .LBB28_3
.LBB28_7:                               ;   Parent Loop BB28_4 Depth=1
                                        ; =>  This Loop Header: Depth=2
                                        ;       Child Loop BB28_21 Depth 3
	v_add_nc_u32_e32 v4, s11, v1
	v_mov_b32_e32 v8, 0
	v_mov_b32_e32 v9, 0
	s_mov_b32 s12, exec_lo
	v_cndmask_b32_e64 v2, v4, v10, s0
	v_cndmask_b32_e64 v3, v10, v4, s0
	v_cmp_gt_i32_e64 s2, v2, v3
	v_cndmask_b32_e64 v5, v10, v4, s2
	v_cndmask_b32_e64 v6, v4, v10, s2
	v_cmp_le_i32_e64 s2, v2, v3
	v_mov_b32_e32 v2, 0
	v_mov_b32_e32 v3, 0
	v_max_i32_e32 v5, v5, v6
	v_mov_b32_e32 v6, 0
	v_mov_b32_e32 v7, 0
	v_cmpx_gt_i32_e64 s45, v5
	s_cbranch_execz .LBB28_17
; %bb.8:                                ;   in Loop: Header=BB28_7 Depth=2
                                        ; implicit-def: $vgpr8_vgpr9
	s_and_saveexec_b32 s3, s2
	s_xor_b32 s3, exec_lo, s3
	s_cbranch_execz .LBB28_14
; %bb.9:                                ;   in Loop: Header=BB28_7 Depth=2
	s_mov_b32 s13, exec_lo
                                        ; implicit-def: $vgpr8_vgpr9
	v_cmpx_ne_u32_e64 v10, v4
	s_xor_b32 s13, exec_lo, s13
	s_cbranch_execz .LBB28_11
; %bb.10:                               ;   in Loop: Header=BB28_7 Depth=2
	v_ashrrev_i32_e32 v6, 31, v4
	v_mul_lo_u32 v7, s19, v4
	v_mad_u64_u32 v[4:5], null, s18, v4, 0
	v_mul_lo_u32 v6, s18, v6
	v_add3_u32 v5, v5, v6, v7
	v_lshlrev_b64 v[4:5], 4, v[4:5]
	v_add_co_u32 v4, s2, v19, v4
	v_add_co_ci_u32_e64 v5, null, v20, v5, s2
	global_load_dwordx4 v[6:9], v[4:5], off
.LBB28_11:                              ;   in Loop: Header=BB28_7 Depth=2
	s_andn2_saveexec_b32 s2, s13
	s_cbranch_execz .LBB28_13
; %bb.12:                               ;   in Loop: Header=BB28_7 Depth=2
	global_load_dwordx2 v[6:7], v[11:12], off
	s_waitcnt vmcnt(1)
	v_mov_b32_e32 v8, 0
	v_mov_b32_e32 v9, 0
.LBB28_13:                              ;   in Loop: Header=BB28_7 Depth=2
	s_or_b32 exec_lo, exec_lo, s2
                                        ; implicit-def: $vgpr4
.LBB28_14:                              ;   in Loop: Header=BB28_7 Depth=2
	s_andn2_saveexec_b32 s3, s3
	s_cbranch_execz .LBB28_16
; %bb.15:                               ;   in Loop: Header=BB28_7 Depth=2
	v_ashrrev_i32_e32 v5, 31, v4
	v_lshlrev_b64 v[4:5], 4, v[4:5]
	v_add_co_u32 v4, s2, v21, v4
	v_add_co_ci_u32_e64 v5, null, v22, v5, s2
	global_load_dwordx4 v[6:9], v[4:5], off
	s_waitcnt vmcnt(0)
	v_xor_b32_e32 v9, 0x80000000, v9
.LBB28_16:                              ;   in Loop: Header=BB28_7 Depth=2
	s_or_b32 exec_lo, exec_lo, s3
.LBB28_17:                              ;   in Loop: Header=BB28_7 Depth=2
	s_or_b32 exec_lo, exec_lo, s12
	v_add_nc_u32_e32 v15, s11, v0
	v_mov_b32_e32 v4, 0
	v_mov_b32_e32 v5, 0
	s_waitcnt vmcnt(0)
	ds_write_b128 v23, v[6:9]
	v_cmp_gt_i32_e64 s2, s45, v15
	s_and_b32 s2, s2, vcc_lo
	s_and_saveexec_b32 s3, s2
	s_cbranch_execz .LBB28_19
; %bb.18:                               ;   in Loop: Header=BB28_7 Depth=2
	v_ashrrev_i32_e32 v16, 31, v15
	v_lshlrev_b64 v[2:3], 4, v[15:16]
	v_add_co_u32 v2, s2, v27, v2
	v_add_co_ci_u32_e64 v3, null, v28, v3, s2
	global_load_dwordx4 v[2:5], v[2:3], off
.LBB28_19:                              ;   in Loop: Header=BB28_7 Depth=2
	s_or_b32 exec_lo, exec_lo, s3
	s_waitcnt vmcnt(0)
	ds_write_b128 v24, v[2:5]
	s_waitcnt lgkmcnt(0)
	s_barrier
	buffer_gl0_inv
	s_and_saveexec_b32 s2, s10
	s_cbranch_execz .LBB28_6
; %bb.20:                               ;   in Loop: Header=BB28_7 Depth=2
	v_mov_b32_e32 v2, 0
	v_mov_b32_e32 v4, 0
	;; [unrolled: 1-line block ×5, first 2 shown]
	s_mov_b32 s3, 0
.LBB28_21:                              ;   Parent Loop BB28_4 Depth=1
                                        ;     Parent Loop BB28_7 Depth=2
                                        ; =>    This Inner Loop Header: Depth=3
	v_add_nc_u32_e32 v9, s3, v17
	s_addk_i32 s3, 0x80
	ds_read_b128 v[29:32], v6
	ds_read_b128 v[33:36], v9
	ds_read_b128 v[37:40], v6 offset:512
	ds_read_b128 v[41:44], v9 offset:16
	;; [unrolled: 1-line block ×3, first 2 shown]
	s_cmpk_eq_i32 s3, 0x200
	s_waitcnt lgkmcnt(3)
	v_mul_f64 v[7:8], v[31:32], v[35:36]
	v_mul_f64 v[15:16], v[29:30], v[35:36]
	s_waitcnt lgkmcnt(1)
	v_mul_f64 v[53:54], v[39:40], v[43:44]
	v_mul_f64 v[43:44], v[37:38], v[43:44]
	v_fma_f64 v[7:8], v[29:30], v[33:34], -v[7:8]
	v_fma_f64 v[15:16], v[31:32], v[33:34], v[15:16]
	ds_read_b128 v[29:32], v9 offset:32
	ds_read_b128 v[33:36], v6 offset:1536
	;; [unrolled: 1-line block ×3, first 2 shown]
	v_fma_f64 v[37:38], v[37:38], v[41:42], -v[53:54]
	v_fma_f64 v[39:40], v[39:40], v[41:42], v[43:44]
	s_waitcnt lgkmcnt(2)
	v_mul_f64 v[55:56], v[47:48], v[31:32]
	v_mul_f64 v[31:32], v[45:46], v[31:32]
	v_add_f64 v[7:8], v[2:3], v[7:8]
	v_add_f64 v[15:16], v[4:5], v[15:16]
	s_waitcnt lgkmcnt(0)
	v_mul_f64 v[53:54], v[35:36], v[51:52]
	v_mul_f64 v[51:52], v[33:34], v[51:52]
	ds_read_b128 v[2:5], v6 offset:2048
	v_fma_f64 v[45:46], v[45:46], v[29:30], -v[55:56]
	v_fma_f64 v[47:48], v[47:48], v[29:30], v[31:32]
	v_add_f64 v[7:8], v[7:8], v[37:38]
	v_add_f64 v[15:16], v[15:16], v[39:40]
	ds_read_b128 v[29:32], v9 offset:64
	ds_read_b128 v[37:40], v6 offset:2560
	;; [unrolled: 1-line block ×3, first 2 shown]
	v_fma_f64 v[53:54], v[33:34], v[49:50], -v[53:54]
	v_fma_f64 v[35:36], v[35:36], v[49:50], v[51:52]
	s_waitcnt lgkmcnt(2)
	v_mul_f64 v[55:56], v[4:5], v[31:32]
	v_mul_f64 v[57:58], v[2:3], v[31:32]
	v_add_f64 v[7:8], v[7:8], v[45:46]
	v_add_f64 v[15:16], v[15:16], v[47:48]
	s_waitcnt lgkmcnt(0)
	v_mul_f64 v[51:52], v[39:40], v[43:44]
	v_mul_f64 v[59:60], v[37:38], v[43:44]
	ds_read_b128 v[31:34], v6 offset:3072
	v_fma_f64 v[55:56], v[2:3], v[29:30], -v[55:56]
	v_fma_f64 v[29:30], v[4:5], v[29:30], v[57:58]
	v_add_f64 v[7:8], v[7:8], v[53:54]
	v_add_f64 v[15:16], v[15:16], v[35:36]
	ds_read_b128 v[2:5], v9 offset:96
	ds_read_b128 v[43:46], v6 offset:3584
	;; [unrolled: 1-line block ×3, first 2 shown]
	v_fma_f64 v[37:38], v[37:38], v[41:42], -v[51:52]
	v_fma_f64 v[39:40], v[39:40], v[41:42], v[59:60]
	v_add_nc_u32_e32 v6, 0x1000, v6
	s_waitcnt lgkmcnt(2)
	v_mul_f64 v[35:36], v[33:34], v[4:5]
	v_mul_f64 v[4:5], v[31:32], v[4:5]
	v_add_f64 v[7:8], v[7:8], v[55:56]
	v_add_f64 v[15:16], v[15:16], v[29:30]
	s_waitcnt lgkmcnt(0)
	v_mul_f64 v[29:30], v[45:46], v[49:50]
	v_mul_f64 v[41:42], v[43:44], v[49:50]
	v_fma_f64 v[31:32], v[31:32], v[2:3], -v[35:36]
	v_fma_f64 v[2:3], v[33:34], v[2:3], v[4:5]
	v_add_f64 v[4:5], v[7:8], v[37:38]
	v_add_f64 v[7:8], v[15:16], v[39:40]
	v_fma_f64 v[15:16], v[43:44], v[47:48], -v[29:30]
	v_fma_f64 v[29:30], v[45:46], v[47:48], v[41:42]
	v_add_f64 v[4:5], v[4:5], v[31:32]
	v_add_f64 v[7:8], v[7:8], v[2:3]
	;; [unrolled: 1-line block ×4, first 2 shown]
	s_cbranch_scc0 .LBB28_21
; %bb.22:                               ;   in Loop: Header=BB28_7 Depth=2
	global_load_dwordx4 v[6:9], v[13:14], off
	v_mul_f64 v[15:16], s[30:31], v[4:5]
	v_mul_f64 v[29:30], s[30:31], v[2:3]
	v_fma_f64 v[2:3], s[28:29], v[2:3], -v[15:16]
	v_fma_f64 v[4:5], s[28:29], v[4:5], v[29:30]
	s_waitcnt vmcnt(0)
	v_add_f64 v[2:3], v[2:3], v[6:7]
	v_add_f64 v[4:5], v[4:5], v[8:9]
	global_store_dwordx4 v[13:14], v[2:5], off
	s_branch .LBB28_6
.LBB28_23:
	s_endpgm
	.section	.rodata,"a",@progbits
	.p2align	6, 0x0
	.amdhsa_kernel _ZL24rocblas_symm_hemm_kernelILb1ELb0ELi32EPK19rocblas_complex_numIdES3_PS1_EvbiiT2_T3_lllS6_lllT4_llli
		.amdhsa_group_segment_fixed_size 32768
		.amdhsa_private_segment_fixed_size 0
		.amdhsa_kernarg_size 384
		.amdhsa_user_sgpr_count 6
		.amdhsa_user_sgpr_private_segment_buffer 1
		.amdhsa_user_sgpr_dispatch_ptr 0
		.amdhsa_user_sgpr_queue_ptr 0
		.amdhsa_user_sgpr_kernarg_segment_ptr 1
		.amdhsa_user_sgpr_dispatch_id 0
		.amdhsa_user_sgpr_flat_scratch_init 0
		.amdhsa_user_sgpr_private_segment_size 0
		.amdhsa_wavefront_size32 1
		.amdhsa_uses_dynamic_stack 0
		.amdhsa_system_sgpr_private_segment_wavefront_offset 0
		.amdhsa_system_sgpr_workgroup_id_x 1
		.amdhsa_system_sgpr_workgroup_id_y 1
		.amdhsa_system_sgpr_workgroup_id_z 1
		.amdhsa_system_sgpr_workgroup_info 0
		.amdhsa_system_vgpr_workitem_id 1
		.amdhsa_next_free_vgpr 61
		.amdhsa_next_free_sgpr 48
		.amdhsa_reserve_vcc 1
		.amdhsa_reserve_flat_scratch 0
		.amdhsa_float_round_mode_32 0
		.amdhsa_float_round_mode_16_64 0
		.amdhsa_float_denorm_mode_32 3
		.amdhsa_float_denorm_mode_16_64 3
		.amdhsa_dx10_clamp 1
		.amdhsa_ieee_mode 1
		.amdhsa_fp16_overflow 0
		.amdhsa_workgroup_processor_mode 1
		.amdhsa_memory_ordered 1
		.amdhsa_forward_progress 1
		.amdhsa_shared_vgpr_count 0
		.amdhsa_exception_fp_ieee_invalid_op 0
		.amdhsa_exception_fp_denorm_src 0
		.amdhsa_exception_fp_ieee_div_zero 0
		.amdhsa_exception_fp_ieee_overflow 0
		.amdhsa_exception_fp_ieee_underflow 0
		.amdhsa_exception_fp_ieee_inexact 0
		.amdhsa_exception_int_div_zero 0
	.end_amdhsa_kernel
	.section	.text._ZL24rocblas_symm_hemm_kernelILb1ELb0ELi32EPK19rocblas_complex_numIdES3_PS1_EvbiiT2_T3_lllS6_lllT4_llli,"axG",@progbits,_ZL24rocblas_symm_hemm_kernelILb1ELb0ELi32EPK19rocblas_complex_numIdES3_PS1_EvbiiT2_T3_lllS6_lllT4_llli,comdat
.Lfunc_end28:
	.size	_ZL24rocblas_symm_hemm_kernelILb1ELb0ELi32EPK19rocblas_complex_numIdES3_PS1_EvbiiT2_T3_lllS6_lllT4_llli, .Lfunc_end28-_ZL24rocblas_symm_hemm_kernelILb1ELb0ELi32EPK19rocblas_complex_numIdES3_PS1_EvbiiT2_T3_lllS6_lllT4_llli
                                        ; -- End function
	.set _ZL24rocblas_symm_hemm_kernelILb1ELb0ELi32EPK19rocblas_complex_numIdES3_PS1_EvbiiT2_T3_lllS6_lllT4_llli.num_vgpr, 61
	.set _ZL24rocblas_symm_hemm_kernelILb1ELb0ELi32EPK19rocblas_complex_numIdES3_PS1_EvbiiT2_T3_lllS6_lllT4_llli.num_agpr, 0
	.set _ZL24rocblas_symm_hemm_kernelILb1ELb0ELi32EPK19rocblas_complex_numIdES3_PS1_EvbiiT2_T3_lllS6_lllT4_llli.numbered_sgpr, 48
	.set _ZL24rocblas_symm_hemm_kernelILb1ELb0ELi32EPK19rocblas_complex_numIdES3_PS1_EvbiiT2_T3_lllS6_lllT4_llli.num_named_barrier, 0
	.set _ZL24rocblas_symm_hemm_kernelILb1ELb0ELi32EPK19rocblas_complex_numIdES3_PS1_EvbiiT2_T3_lllS6_lllT4_llli.private_seg_size, 0
	.set _ZL24rocblas_symm_hemm_kernelILb1ELb0ELi32EPK19rocblas_complex_numIdES3_PS1_EvbiiT2_T3_lllS6_lllT4_llli.uses_vcc, 1
	.set _ZL24rocblas_symm_hemm_kernelILb1ELb0ELi32EPK19rocblas_complex_numIdES3_PS1_EvbiiT2_T3_lllS6_lllT4_llli.uses_flat_scratch, 0
	.set _ZL24rocblas_symm_hemm_kernelILb1ELb0ELi32EPK19rocblas_complex_numIdES3_PS1_EvbiiT2_T3_lllS6_lllT4_llli.has_dyn_sized_stack, 0
	.set _ZL24rocblas_symm_hemm_kernelILb1ELb0ELi32EPK19rocblas_complex_numIdES3_PS1_EvbiiT2_T3_lllS6_lllT4_llli.has_recursion, 0
	.set _ZL24rocblas_symm_hemm_kernelILb1ELb0ELi32EPK19rocblas_complex_numIdES3_PS1_EvbiiT2_T3_lllS6_lllT4_llli.has_indirect_call, 0
	.section	.AMDGPU.csdata,"",@progbits
; Kernel info:
; codeLenInByte = 1692
; TotalNumSgprs: 50
; NumVgprs: 61
; ScratchSize: 0
; MemoryBound: 1
; FloatMode: 240
; IeeeMode: 1
; LDSByteSize: 32768 bytes/workgroup (compile time only)
; SGPRBlocks: 0
; VGPRBlocks: 7
; NumSGPRsForWavesPerEU: 50
; NumVGPRsForWavesPerEU: 61
; Occupancy: 16
; WaveLimiterHint : 0
; COMPUTE_PGM_RSRC2:SCRATCH_EN: 0
; COMPUTE_PGM_RSRC2:USER_SGPR: 6
; COMPUTE_PGM_RSRC2:TRAP_HANDLER: 0
; COMPUTE_PGM_RSRC2:TGID_X_EN: 1
; COMPUTE_PGM_RSRC2:TGID_Y_EN: 1
; COMPUTE_PGM_RSRC2:TGID_Z_EN: 1
; COMPUTE_PGM_RSRC2:TIDIG_COMP_CNT: 1
	.section	.text._ZL24rocblas_symm_hemm_kernelILb1ELb1ELi32EPK19rocblas_complex_numIdES3_PS1_EvbiiT2_T3_lllS6_lllT4_llli,"axG",@progbits,_ZL24rocblas_symm_hemm_kernelILb1ELb1ELi32EPK19rocblas_complex_numIdES3_PS1_EvbiiT2_T3_lllS6_lllT4_llli,comdat
	.globl	_ZL24rocblas_symm_hemm_kernelILb1ELb1ELi32EPK19rocblas_complex_numIdES3_PS1_EvbiiT2_T3_lllS6_lllT4_llli ; -- Begin function _ZL24rocblas_symm_hemm_kernelILb1ELb1ELi32EPK19rocblas_complex_numIdES3_PS1_EvbiiT2_T3_lllS6_lllT4_llli
	.p2align	8
	.type	_ZL24rocblas_symm_hemm_kernelILb1ELb1ELi32EPK19rocblas_complex_numIdES3_PS1_EvbiiT2_T3_lllS6_lllT4_llli,@function
_ZL24rocblas_symm_hemm_kernelILb1ELb1ELi32EPK19rocblas_complex_numIdES3_PS1_EvbiiT2_T3_lllS6_lllT4_llli: ; @_ZL24rocblas_symm_hemm_kernelILb1ELb1ELi32EPK19rocblas_complex_numIdES3_PS1_EvbiiT2_T3_lllS6_lllT4_llli
; %bb.0:
	s_load_dwordx16 s[12:27], s[4:5], 0x10
	s_waitcnt lgkmcnt(0)
	s_load_dwordx4 s[28:31], s[12:13], 0x0
	s_waitcnt lgkmcnt(0)
	v_cmp_eq_f64_e64 s0, s[28:29], 0
	v_cmp_eq_f64_e64 s1, s[30:31], 0
	s_and_b32 s0, s0, s1
	s_and_b32 vcc_lo, exec_lo, s0
	s_cbranch_vccnz .LBB29_23
; %bb.1:
	s_load_dwordx4 s[44:47], s[4:5], 0x0
	s_waitcnt lgkmcnt(0)
	s_add_i32 s0, s46, -1
	s_ashr_i32 s1, s0, 31
	s_lshr_b32 s1, s1, 27
	s_add_i32 s0, s0, s1
	s_ashr_i32 s3, s0, 5
	s_cmp_gt_i32 s7, s3
	s_cbranch_scc1 .LBB29_23
; %bb.2:
	s_clause 0x1
	s_load_dwordx2 s[10:11], s[4:5], 0x70
	s_load_dwordx8 s[36:43], s[4:5], 0x50
	s_mul_i32 s1, s21, s8
	s_mul_hi_u32 s2, s20, s8
	s_mul_i32 s0, s20, s8
	s_add_i32 s1, s2, s1
	v_lshl_add_u32 v2, s6, 5, v0
	s_lshl_b64 s[0:1], s[0:1], 4
	s_load_dword s4, s[4:5], 0x84
	s_add_u32 s2, s14, s0
	s_addc_u32 s9, s15, s1
	s_lshl_b64 s[0:1], s[16:17], 4
	v_ashrrev_i32_e32 v3, 31, v2
	s_add_u32 s6, s2, s0
	s_addc_u32 s9, s9, s1
	s_bitcmp1_b32 s44, 0
	v_lshlrev_b32_e32 v5, 4, v1
	s_cselect_b32 s0, -1, 0
	v_lshlrev_b64 v[3:4], 4, v[2:3]
	v_lshlrev_b32_e32 v17, 9, v0
	s_waitcnt lgkmcnt(0)
	s_mul_i32 s1, s11, s8
	s_mul_hi_u32 s2, s10, s8
	s_mul_i32 s10, s10, s8
	s_add_i32 s11, s2, s1
	s_mul_i32 s1, s37, s8
	s_lshl_b64 s[10:11], s[10:11], 4
	s_mul_hi_u32 s2, s36, s8
	s_add_u32 s5, s38, s10
	s_addc_u32 s13, s39, s11
	s_lshl_b64 s[10:11], s[40:41], 4
	s_mul_i32 s12, s36, s8
	s_add_u32 s5, s5, s10
	s_addc_u32 s8, s13, s11
	s_add_i32 s13, s2, s1
	v_or_b32_e32 v18, 0x4000, v5
	s_lshl_b64 s[10:11], s[12:13], 4
	v_add_nc_u32_e32 v21, v17, v5
	s_add_u32 s1, s22, s10
	s_addc_u32 s2, s23, s11
	s_lshl_b64 s[10:11], s[24:25], 4
	v_add_nc_u32_e32 v22, v18, v17
	s_add_u32 s10, s1, s10
	s_addc_u32 s2, s2, s11
	v_add_co_u32 v19, vcc_lo, s10, v3
	v_add_co_ci_u32_e64 v20, null, s2, v4, vcc_lo
	v_add_co_u32 v23, vcc_lo, s5, v3
	v_cmp_gt_i32_e64 s1, s45, v2
	v_add_co_ci_u32_e64 v24, null, s8, v4, vcc_lo
	s_cmp_gt_i32 s46, 0
	s_cselect_b32 s5, -1, 0
	s_branch .LBB29_4
.LBB29_3:                               ;   in Loop: Header=BB29_4 Depth=1
	s_add_i32 s7, s7, s4
	s_cmp_gt_i32 s7, s3
	s_cbranch_scc1 .LBB29_23
.LBB29_4:                               ; =>This Loop Header: Depth=1
                                        ;     Child Loop BB29_7 Depth 2
                                        ;       Child Loop BB29_21 Depth 3
	s_andn2_b32 vcc_lo, exec_lo, s5
	s_cbranch_vccnz .LBB29_3
; %bb.5:                                ;   in Loop: Header=BB29_4 Depth=1
	v_lshl_add_u32 v10, s7, 5, v1
	s_mov_b32 s10, 0
	v_ashrrev_i32_e32 v11, 31, v10
	v_mul_lo_u32 v6, s19, v10
	v_mad_u64_u32 v[2:3], null, s18, v10, 0
	v_mul_lo_u32 v8, s43, v10
	v_mul_lo_u32 v7, s18, v11
	v_mad_u64_u32 v[4:5], null, s42, v10, 0
	v_mul_lo_u32 v9, s42, v11
	v_cmp_gt_i32_e32 vcc_lo, s46, v10
	v_add3_u32 v3, v3, v7, v6
	v_lshlrev_b64 v[6:7], 4, v[10:11]
	s_and_b32 s8, s1, vcc_lo
	v_add3_u32 v5, v5, v9, v8
	v_lshlrev_b64 v[2:3], 4, v[2:3]
	v_add_co_u32 v25, s2, s6, v6
	v_lshlrev_b64 v[4:5], 4, v[4:5]
	v_add_co_ci_u32_e64 v26, null, s9, v7, s2
	v_add_co_u32 v27, s2, s6, v2
	v_add_co_ci_u32_e64 v28, null, s9, v3, s2
	v_add_co_u32 v11, s2, v23, v4
	;; [unrolled: 2-line block ×3, first 2 shown]
	v_add_co_ci_u32_e64 v14, null, v28, v7, s2
	s_branch .LBB29_7
.LBB29_6:                               ;   in Loop: Header=BB29_7 Depth=2
	s_or_b32 exec_lo, exec_lo, s2
	s_add_i32 s10, s10, 32
	s_waitcnt_vscnt null, 0x0
	s_cmp_ge_i32 s10, s46
	s_barrier
	buffer_gl0_inv
	s_cbranch_scc1 .LBB29_3
.LBB29_7:                               ;   Parent Loop BB29_4 Depth=1
                                        ; =>  This Loop Header: Depth=2
                                        ;       Child Loop BB29_21 Depth 3
	v_add_nc_u32_e32 v4, s10, v1
	v_mov_b32_e32 v2, 0
	v_mov_b32_e32 v6, 0
	;; [unrolled: 1-line block ×4, first 2 shown]
	v_cmp_gt_i32_e32 vcc_lo, s46, v4
	v_mov_b32_e32 v7, 0
	v_mov_b32_e32 v9, 0
	s_and_b32 s11, s1, vcc_lo
	s_and_saveexec_b32 s2, s11
	s_cbranch_execz .LBB29_9
; %bb.8:                                ;   in Loop: Header=BB29_7 Depth=2
	v_ashrrev_i32_e32 v6, 31, v4
	v_mul_lo_u32 v7, s27, v4
	v_mad_u64_u32 v[4:5], null, s26, v4, 0
	v_mul_lo_u32 v6, s26, v6
	v_add3_u32 v5, v5, v6, v7
	v_lshlrev_b64 v[4:5], 4, v[4:5]
	v_add_co_u32 v4, vcc_lo, v19, v4
	v_add_co_ci_u32_e64 v5, null, v20, v5, vcc_lo
	global_load_dwordx4 v[6:9], v[4:5], off
.LBB29_9:                               ;   in Loop: Header=BB29_7 Depth=2
	s_or_b32 exec_lo, exec_lo, s2
	v_add_nc_u32_e32 v15, s10, v0
	s_mov_b32 s11, exec_lo
	s_waitcnt vmcnt(0)
	ds_write_b128 v21, v[6:9]
	v_cndmask_b32_e64 v4, v10, v15, s0
	v_cndmask_b32_e64 v5, v15, v10, s0
	v_cmp_gt_i32_e32 vcc_lo, v4, v5
	v_cndmask_b32_e32 v16, v15, v10, vcc_lo
	v_cndmask_b32_e32 v29, v10, v15, vcc_lo
	v_cmp_le_i32_e32 vcc_lo, v4, v5
	v_mov_b32_e32 v4, 0
	v_mov_b32_e32 v5, 0
	v_max_i32_e32 v16, v16, v29
	v_cmpx_gt_i32_e64 s46, v16
	s_cbranch_execz .LBB29_19
; %bb.10:                               ;   in Loop: Header=BB29_7 Depth=2
                                        ; implicit-def: $vgpr4_vgpr5
	s_and_saveexec_b32 s2, vcc_lo
	s_xor_b32 s2, exec_lo, s2
	s_cbranch_execz .LBB29_16
; %bb.11:                               ;   in Loop: Header=BB29_7 Depth=2
	s_mov_b32 s12, exec_lo
                                        ; implicit-def: $vgpr4_vgpr5
	v_cmpx_ne_u32_e64 v15, v10
	s_xor_b32 s12, exec_lo, s12
	s_cbranch_execz .LBB29_13
; %bb.12:                               ;   in Loop: Header=BB29_7 Depth=2
	v_ashrrev_i32_e32 v16, 31, v15
	v_lshlrev_b64 v[2:3], 4, v[15:16]
	v_add_co_u32 v2, vcc_lo, v27, v2
	v_add_co_ci_u32_e64 v3, null, v28, v3, vcc_lo
	global_load_dwordx4 v[2:5], v[2:3], off
.LBB29_13:                              ;   in Loop: Header=BB29_7 Depth=2
	s_andn2_saveexec_b32 s12, s12
	s_cbranch_execz .LBB29_15
; %bb.14:                               ;   in Loop: Header=BB29_7 Depth=2
	global_load_dwordx2 v[2:3], v[13:14], off
	s_waitcnt vmcnt(1)
	v_mov_b32_e32 v4, 0
	v_mov_b32_e32 v5, 0
.LBB29_15:                              ;   in Loop: Header=BB29_7 Depth=2
	s_or_b32 exec_lo, exec_lo, s12
                                        ; implicit-def: $vgpr15
.LBB29_16:                              ;   in Loop: Header=BB29_7 Depth=2
	s_andn2_saveexec_b32 s2, s2
	s_cbranch_execz .LBB29_18
; %bb.17:                               ;   in Loop: Header=BB29_7 Depth=2
	s_waitcnt vmcnt(0)
	v_ashrrev_i32_e32 v4, 31, v15
	v_mul_lo_u32 v5, s19, v15
	v_mad_u64_u32 v[2:3], null, s18, v15, 0
	v_mul_lo_u32 v4, s18, v4
	v_add3_u32 v3, v3, v4, v5
	v_lshlrev_b64 v[2:3], 4, v[2:3]
	v_add_co_u32 v2, vcc_lo, v25, v2
	v_add_co_ci_u32_e64 v3, null, v26, v3, vcc_lo
	global_load_dwordx4 v[2:5], v[2:3], off
	s_waitcnt vmcnt(0)
	v_xor_b32_e32 v5, 0x80000000, v5
.LBB29_18:                              ;   in Loop: Header=BB29_7 Depth=2
	s_or_b32 exec_lo, exec_lo, s2
.LBB29_19:                              ;   in Loop: Header=BB29_7 Depth=2
	s_or_b32 exec_lo, exec_lo, s11
	s_waitcnt vmcnt(0)
	ds_write_b128 v22, v[2:5]
	s_waitcnt lgkmcnt(0)
	s_barrier
	buffer_gl0_inv
	s_and_saveexec_b32 s2, s8
	s_cbranch_execz .LBB29_6
; %bb.20:                               ;   in Loop: Header=BB29_7 Depth=2
	v_mov_b32_e32 v2, 0
	v_mov_b32_e32 v4, 0
	v_mov_b32_e32 v3, 0
	v_mov_b32_e32 v5, 0
	v_mov_b32_e32 v6, v18
	s_mov_b32 s11, 0
.LBB29_21:                              ;   Parent Loop BB29_4 Depth=1
                                        ;     Parent Loop BB29_7 Depth=2
                                        ; =>    This Inner Loop Header: Depth=3
	v_add_nc_u32_e32 v9, s11, v17
	s_addk_i32 s11, 0x80
	ds_read_b128 v[29:32], v6
	ds_read_b128 v[33:36], v9
	ds_read_b128 v[37:40], v6 offset:512
	ds_read_b128 v[41:44], v9 offset:16
	;; [unrolled: 1-line block ×3, first 2 shown]
	s_cmpk_eq_i32 s11, 0x200
	s_waitcnt lgkmcnt(3)
	v_mul_f64 v[7:8], v[31:32], v[35:36]
	v_mul_f64 v[15:16], v[29:30], v[35:36]
	s_waitcnt lgkmcnt(1)
	v_mul_f64 v[53:54], v[39:40], v[43:44]
	v_mul_f64 v[43:44], v[37:38], v[43:44]
	v_fma_f64 v[7:8], v[29:30], v[33:34], -v[7:8]
	v_fma_f64 v[15:16], v[31:32], v[33:34], v[15:16]
	ds_read_b128 v[29:32], v9 offset:32
	ds_read_b128 v[33:36], v6 offset:1536
	;; [unrolled: 1-line block ×3, first 2 shown]
	v_fma_f64 v[37:38], v[37:38], v[41:42], -v[53:54]
	v_fma_f64 v[39:40], v[39:40], v[41:42], v[43:44]
	s_waitcnt lgkmcnt(2)
	v_mul_f64 v[55:56], v[47:48], v[31:32]
	v_mul_f64 v[31:32], v[45:46], v[31:32]
	v_add_f64 v[7:8], v[2:3], v[7:8]
	v_add_f64 v[15:16], v[4:5], v[15:16]
	s_waitcnt lgkmcnt(0)
	v_mul_f64 v[53:54], v[35:36], v[51:52]
	v_mul_f64 v[51:52], v[33:34], v[51:52]
	ds_read_b128 v[2:5], v6 offset:2048
	v_fma_f64 v[45:46], v[45:46], v[29:30], -v[55:56]
	v_fma_f64 v[47:48], v[47:48], v[29:30], v[31:32]
	v_add_f64 v[7:8], v[7:8], v[37:38]
	v_add_f64 v[15:16], v[15:16], v[39:40]
	ds_read_b128 v[29:32], v9 offset:64
	ds_read_b128 v[37:40], v6 offset:2560
	;; [unrolled: 1-line block ×3, first 2 shown]
	v_fma_f64 v[53:54], v[33:34], v[49:50], -v[53:54]
	v_fma_f64 v[35:36], v[35:36], v[49:50], v[51:52]
	s_waitcnt lgkmcnt(2)
	v_mul_f64 v[55:56], v[4:5], v[31:32]
	v_mul_f64 v[57:58], v[2:3], v[31:32]
	v_add_f64 v[7:8], v[7:8], v[45:46]
	v_add_f64 v[15:16], v[15:16], v[47:48]
	s_waitcnt lgkmcnt(0)
	v_mul_f64 v[51:52], v[39:40], v[43:44]
	v_mul_f64 v[59:60], v[37:38], v[43:44]
	ds_read_b128 v[31:34], v6 offset:3072
	v_fma_f64 v[55:56], v[2:3], v[29:30], -v[55:56]
	v_fma_f64 v[29:30], v[4:5], v[29:30], v[57:58]
	v_add_f64 v[7:8], v[7:8], v[53:54]
	v_add_f64 v[15:16], v[15:16], v[35:36]
	ds_read_b128 v[2:5], v9 offset:96
	ds_read_b128 v[43:46], v6 offset:3584
	;; [unrolled: 1-line block ×3, first 2 shown]
	v_fma_f64 v[37:38], v[37:38], v[41:42], -v[51:52]
	v_fma_f64 v[39:40], v[39:40], v[41:42], v[59:60]
	v_add_nc_u32_e32 v6, 0x1000, v6
	s_waitcnt lgkmcnt(2)
	v_mul_f64 v[35:36], v[33:34], v[4:5]
	v_mul_f64 v[4:5], v[31:32], v[4:5]
	v_add_f64 v[7:8], v[7:8], v[55:56]
	v_add_f64 v[15:16], v[15:16], v[29:30]
	s_waitcnt lgkmcnt(0)
	v_mul_f64 v[29:30], v[45:46], v[49:50]
	v_mul_f64 v[41:42], v[43:44], v[49:50]
	v_fma_f64 v[31:32], v[31:32], v[2:3], -v[35:36]
	v_fma_f64 v[2:3], v[33:34], v[2:3], v[4:5]
	v_add_f64 v[4:5], v[7:8], v[37:38]
	v_add_f64 v[7:8], v[15:16], v[39:40]
	v_fma_f64 v[15:16], v[43:44], v[47:48], -v[29:30]
	v_fma_f64 v[29:30], v[45:46], v[47:48], v[41:42]
	v_add_f64 v[4:5], v[4:5], v[31:32]
	v_add_f64 v[7:8], v[7:8], v[2:3]
	;; [unrolled: 1-line block ×4, first 2 shown]
	s_cbranch_scc0 .LBB29_21
; %bb.22:                               ;   in Loop: Header=BB29_7 Depth=2
	global_load_dwordx4 v[6:9], v[11:12], off
	v_mul_f64 v[15:16], s[30:31], v[4:5]
	v_mul_f64 v[29:30], s[30:31], v[2:3]
	v_fma_f64 v[2:3], s[28:29], v[2:3], -v[15:16]
	v_fma_f64 v[4:5], s[28:29], v[4:5], v[29:30]
	s_waitcnt vmcnt(0)
	v_add_f64 v[2:3], v[2:3], v[6:7]
	v_add_f64 v[4:5], v[4:5], v[8:9]
	global_store_dwordx4 v[11:12], v[2:5], off
	s_branch .LBB29_6
.LBB29_23:
	s_endpgm
	.section	.rodata,"a",@progbits
	.p2align	6, 0x0
	.amdhsa_kernel _ZL24rocblas_symm_hemm_kernelILb1ELb1ELi32EPK19rocblas_complex_numIdES3_PS1_EvbiiT2_T3_lllS6_lllT4_llli
		.amdhsa_group_segment_fixed_size 32768
		.amdhsa_private_segment_fixed_size 0
		.amdhsa_kernarg_size 384
		.amdhsa_user_sgpr_count 6
		.amdhsa_user_sgpr_private_segment_buffer 1
		.amdhsa_user_sgpr_dispatch_ptr 0
		.amdhsa_user_sgpr_queue_ptr 0
		.amdhsa_user_sgpr_kernarg_segment_ptr 1
		.amdhsa_user_sgpr_dispatch_id 0
		.amdhsa_user_sgpr_flat_scratch_init 0
		.amdhsa_user_sgpr_private_segment_size 0
		.amdhsa_wavefront_size32 1
		.amdhsa_uses_dynamic_stack 0
		.amdhsa_system_sgpr_private_segment_wavefront_offset 0
		.amdhsa_system_sgpr_workgroup_id_x 1
		.amdhsa_system_sgpr_workgroup_id_y 1
		.amdhsa_system_sgpr_workgroup_id_z 1
		.amdhsa_system_sgpr_workgroup_info 0
		.amdhsa_system_vgpr_workitem_id 1
		.amdhsa_next_free_vgpr 61
		.amdhsa_next_free_sgpr 48
		.amdhsa_reserve_vcc 1
		.amdhsa_reserve_flat_scratch 0
		.amdhsa_float_round_mode_32 0
		.amdhsa_float_round_mode_16_64 0
		.amdhsa_float_denorm_mode_32 3
		.amdhsa_float_denorm_mode_16_64 3
		.amdhsa_dx10_clamp 1
		.amdhsa_ieee_mode 1
		.amdhsa_fp16_overflow 0
		.amdhsa_workgroup_processor_mode 1
		.amdhsa_memory_ordered 1
		.amdhsa_forward_progress 1
		.amdhsa_shared_vgpr_count 0
		.amdhsa_exception_fp_ieee_invalid_op 0
		.amdhsa_exception_fp_denorm_src 0
		.amdhsa_exception_fp_ieee_div_zero 0
		.amdhsa_exception_fp_ieee_overflow 0
		.amdhsa_exception_fp_ieee_underflow 0
		.amdhsa_exception_fp_ieee_inexact 0
		.amdhsa_exception_int_div_zero 0
	.end_amdhsa_kernel
	.section	.text._ZL24rocblas_symm_hemm_kernelILb1ELb1ELi32EPK19rocblas_complex_numIdES3_PS1_EvbiiT2_T3_lllS6_lllT4_llli,"axG",@progbits,_ZL24rocblas_symm_hemm_kernelILb1ELb1ELi32EPK19rocblas_complex_numIdES3_PS1_EvbiiT2_T3_lllS6_lllT4_llli,comdat
.Lfunc_end29:
	.size	_ZL24rocblas_symm_hemm_kernelILb1ELb1ELi32EPK19rocblas_complex_numIdES3_PS1_EvbiiT2_T3_lllS6_lllT4_llli, .Lfunc_end29-_ZL24rocblas_symm_hemm_kernelILb1ELb1ELi32EPK19rocblas_complex_numIdES3_PS1_EvbiiT2_T3_lllS6_lllT4_llli
                                        ; -- End function
	.set _ZL24rocblas_symm_hemm_kernelILb1ELb1ELi32EPK19rocblas_complex_numIdES3_PS1_EvbiiT2_T3_lllS6_lllT4_llli.num_vgpr, 61
	.set _ZL24rocblas_symm_hemm_kernelILb1ELb1ELi32EPK19rocblas_complex_numIdES3_PS1_EvbiiT2_T3_lllS6_lllT4_llli.num_agpr, 0
	.set _ZL24rocblas_symm_hemm_kernelILb1ELb1ELi32EPK19rocblas_complex_numIdES3_PS1_EvbiiT2_T3_lllS6_lllT4_llli.numbered_sgpr, 48
	.set _ZL24rocblas_symm_hemm_kernelILb1ELb1ELi32EPK19rocblas_complex_numIdES3_PS1_EvbiiT2_T3_lllS6_lllT4_llli.num_named_barrier, 0
	.set _ZL24rocblas_symm_hemm_kernelILb1ELb1ELi32EPK19rocblas_complex_numIdES3_PS1_EvbiiT2_T3_lllS6_lllT4_llli.private_seg_size, 0
	.set _ZL24rocblas_symm_hemm_kernelILb1ELb1ELi32EPK19rocblas_complex_numIdES3_PS1_EvbiiT2_T3_lllS6_lllT4_llli.uses_vcc, 1
	.set _ZL24rocblas_symm_hemm_kernelILb1ELb1ELi32EPK19rocblas_complex_numIdES3_PS1_EvbiiT2_T3_lllS6_lllT4_llli.uses_flat_scratch, 0
	.set _ZL24rocblas_symm_hemm_kernelILb1ELb1ELi32EPK19rocblas_complex_numIdES3_PS1_EvbiiT2_T3_lllS6_lllT4_llli.has_dyn_sized_stack, 0
	.set _ZL24rocblas_symm_hemm_kernelILb1ELb1ELi32EPK19rocblas_complex_numIdES3_PS1_EvbiiT2_T3_lllS6_lllT4_llli.has_recursion, 0
	.set _ZL24rocblas_symm_hemm_kernelILb1ELb1ELi32EPK19rocblas_complex_numIdES3_PS1_EvbiiT2_T3_lllS6_lllT4_llli.has_indirect_call, 0
	.section	.AMDGPU.csdata,"",@progbits
; Kernel info:
; codeLenInByte = 1676
; TotalNumSgprs: 50
; NumVgprs: 61
; ScratchSize: 0
; MemoryBound: 1
; FloatMode: 240
; IeeeMode: 1
; LDSByteSize: 32768 bytes/workgroup (compile time only)
; SGPRBlocks: 0
; VGPRBlocks: 7
; NumSGPRsForWavesPerEU: 50
; NumVGPRsForWavesPerEU: 61
; Occupancy: 16
; WaveLimiterHint : 0
; COMPUTE_PGM_RSRC2:SCRATCH_EN: 0
; COMPUTE_PGM_RSRC2:USER_SGPR: 6
; COMPUTE_PGM_RSRC2:TRAP_HANDLER: 0
; COMPUTE_PGM_RSRC2:TGID_X_EN: 1
; COMPUTE_PGM_RSRC2:TGID_Y_EN: 1
; COMPUTE_PGM_RSRC2:TGID_Z_EN: 1
; COMPUTE_PGM_RSRC2:TIDIG_COMP_CNT: 1
	.section	.text._ZL24rocblas_symm_hemm_kernelILb1ELb0ELi32E19rocblas_complex_numIdEPKS1_PS1_EvbiiT2_T3_lllS6_lllT4_llli,"axG",@progbits,_ZL24rocblas_symm_hemm_kernelILb1ELb0ELi32E19rocblas_complex_numIdEPKS1_PS1_EvbiiT2_T3_lllS6_lllT4_llli,comdat
	.globl	_ZL24rocblas_symm_hemm_kernelILb1ELb0ELi32E19rocblas_complex_numIdEPKS1_PS1_EvbiiT2_T3_lllS6_lllT4_llli ; -- Begin function _ZL24rocblas_symm_hemm_kernelILb1ELb0ELi32E19rocblas_complex_numIdEPKS1_PS1_EvbiiT2_T3_lllS6_lllT4_llli
	.p2align	8
	.type	_ZL24rocblas_symm_hemm_kernelILb1ELb0ELi32E19rocblas_complex_numIdEPKS1_PS1_EvbiiT2_T3_lllS6_lllT4_llli,@function
_ZL24rocblas_symm_hemm_kernelILb1ELb0ELi32E19rocblas_complex_numIdEPKS1_PS1_EvbiiT2_T3_lllS6_lllT4_llli: ; @_ZL24rocblas_symm_hemm_kernelILb1ELb0ELi32E19rocblas_complex_numIdEPKS1_PS1_EvbiiT2_T3_lllS6_lllT4_llli
; %bb.0:
	s_load_dwordx16 s[12:27], s[4:5], 0x10
	s_waitcnt lgkmcnt(0)
	v_cmp_eq_f64_e64 s0, s[12:13], 0
	v_cmp_eq_f64_e64 s1, s[14:15], 0
	s_and_b32 s0, s0, s1
	s_and_b32 vcc_lo, exec_lo, s0
	s_cbranch_vccnz .LBB30_23
; %bb.1:
	s_load_dwordx4 s[28:31], s[4:5], 0x0
	s_waitcnt lgkmcnt(0)
	s_add_i32 s0, s30, -1
	s_ashr_i32 s1, s0, 31
	s_lshr_b32 s1, s1, 27
	s_add_i32 s0, s0, s1
	s_ashr_i32 s9, s0, 5
	s_cmp_gt_i32 s7, s9
	s_cbranch_scc1 .LBB30_23
; %bb.2:
	s_clause 0x2
	s_load_dwordx8 s[36:43], s[4:5], 0x50
	s_load_dwordx4 s[44:47], s[4:5], 0x70
	s_load_dword s4, s[4:5], 0x8c
	v_lshl_add_u32 v10, s6, 5, v0
	s_mul_i32 s3, s23, s8
	s_mul_hi_u32 s23, s22, s8
	s_mul_i32 s2, s22, s8
	v_lshlrev_b32_e32 v6, 4, v1
	v_ashrrev_i32_e32 v11, 31, v10
	v_mul_lo_u32 v4, s21, v10
	v_mad_u64_u32 v[2:3], null, s20, v10, 0
	v_lshlrev_b32_e32 v17, 9, v0
	v_mul_lo_u32 v5, s20, v11
	v_or_b32_e32 v18, 0x4000, v6
	v_add_nc_u32_e32 v23, v17, v6
	v_add_nc_u32_e32 v24, v18, v17
	s_waitcnt lgkmcnt(0)
	s_mul_i32 s1, s39, s8
	s_mul_hi_u32 s5, s38, s8
	s_mul_i32 s0, s38, s8
	s_add_i32 s1, s5, s1
	s_mul_i32 s11, s47, s8
	s_lshl_b64 s[0:1], s[0:1], 4
	s_mul_hi_u32 s22, s46, s8
	s_add_u32 s5, s24, s0
	s_addc_u32 s6, s25, s1
	s_lshl_b64 s[0:1], s[26:27], 4
	s_mul_i32 s10, s46, s8
	s_add_u32 s5, s5, s0
	s_addc_u32 s6, s6, s1
	s_bitcmp1_b32 s28, 0
	v_add3_u32 v3, v3, v5, v4
	s_cselect_b32 s0, -1, 0
	s_add_i32 s11, s22, s11
	v_lshlrev_b64 v[4:5], 4, v[10:11]
	s_lshl_b64 s[10:11], s[10:11], 4
	v_lshlrev_b64 v[2:3], 4, v[2:3]
	s_add_u32 s1, s40, s10
	s_addc_u32 s8, s41, s11
	s_lshl_b64 s[10:11], s[42:43], 4
	s_add_u32 s10, s1, s10
	s_addc_u32 s8, s8, s11
	s_add_i32 s3, s23, s3
	s_lshl_b64 s[2:3], s[2:3], 4
	s_add_u32 s1, s16, s2
	s_addc_u32 s11, s17, s3
	s_lshl_b64 s[2:3], s[18:19], 4
	s_add_u32 s1, s1, s2
	s_addc_u32 s2, s11, s3
	v_add_co_u32 v19, vcc_lo, s1, v4
	v_add_co_ci_u32_e64 v20, null, s2, v5, vcc_lo
	v_add_co_u32 v21, vcc_lo, s1, v2
	v_add_co_ci_u32_e64 v22, null, s2, v3, vcc_lo
	;; [unrolled: 2-line block ×3, first 2 shown]
	v_add_co_u32 v11, vcc_lo, v19, v2
	v_cmp_gt_i32_e64 s1, s29, v10
	v_add_co_ci_u32_e64 v12, null, v20, v3, vcc_lo
	s_cmp_gt_i32 s29, 0
	s_cselect_b32 s8, -1, 0
	s_branch .LBB30_4
.LBB30_3:                               ;   in Loop: Header=BB30_4 Depth=1
	s_add_i32 s7, s7, s4
	s_cmp_gt_i32 s7, s9
	s_cbranch_scc1 .LBB30_23
.LBB30_4:                               ; =>This Loop Header: Depth=1
                                        ;     Child Loop BB30_7 Depth 2
                                        ;       Child Loop BB30_21 Depth 3
	s_andn2_b32 vcc_lo, exec_lo, s8
	s_cbranch_vccnz .LBB30_3
; %bb.5:                                ;   in Loop: Header=BB30_4 Depth=1
	v_lshl_add_u32 v6, s7, 5, v1
	s_mov_b32 s11, 0
	v_ashrrev_i32_e32 v7, 31, v6
	v_mul_lo_u32 v8, s37, v6
	v_mad_u64_u32 v[2:3], null, s36, v6, 0
	v_mul_lo_u32 v13, s45, v6
	v_mul_lo_u32 v9, s36, v7
	v_mad_u64_u32 v[4:5], null, s44, v6, 0
	v_mul_lo_u32 v7, s44, v7
	v_cmp_gt_i32_e32 vcc_lo, s30, v6
	v_add3_u32 v3, v3, v9, v8
	s_and_b32 s10, s1, vcc_lo
	v_add3_u32 v5, v5, v7, v13
	v_lshlrev_b64 v[2:3], 4, v[2:3]
	v_lshlrev_b64 v[4:5], 4, v[4:5]
	v_add_co_u32 v27, s2, s5, v2
	v_add_co_ci_u32_e64 v28, null, s6, v3, s2
	v_add_co_u32 v13, s2, v25, v4
	v_add_co_ci_u32_e64 v14, null, v26, v5, s2
	s_branch .LBB30_7
.LBB30_6:                               ;   in Loop: Header=BB30_7 Depth=2
	s_or_b32 exec_lo, exec_lo, s2
	s_add_i32 s11, s11, 32
	s_waitcnt_vscnt null, 0x0
	s_cmp_ge_i32 s11, s29
	s_barrier
	buffer_gl0_inv
	s_cbranch_scc1 .LBB30_3
.LBB30_7:                               ;   Parent Loop BB30_4 Depth=1
                                        ; =>  This Loop Header: Depth=2
                                        ;       Child Loop BB30_21 Depth 3
	v_add_nc_u32_e32 v4, s11, v1
	v_mov_b32_e32 v8, 0
	v_mov_b32_e32 v9, 0
	s_mov_b32 s16, exec_lo
	v_cndmask_b32_e64 v2, v4, v10, s0
	v_cndmask_b32_e64 v3, v10, v4, s0
	v_cmp_gt_i32_e64 s2, v2, v3
	v_cndmask_b32_e64 v5, v10, v4, s2
	v_cndmask_b32_e64 v6, v4, v10, s2
	v_cmp_le_i32_e64 s2, v2, v3
	v_mov_b32_e32 v2, 0
	v_mov_b32_e32 v3, 0
	v_max_i32_e32 v5, v5, v6
	v_mov_b32_e32 v6, 0
	v_mov_b32_e32 v7, 0
	v_cmpx_gt_i32_e64 s29, v5
	s_cbranch_execz .LBB30_17
; %bb.8:                                ;   in Loop: Header=BB30_7 Depth=2
                                        ; implicit-def: $vgpr8_vgpr9
	s_and_saveexec_b32 s3, s2
	s_xor_b32 s3, exec_lo, s3
	s_cbranch_execz .LBB30_14
; %bb.9:                                ;   in Loop: Header=BB30_7 Depth=2
	s_mov_b32 s17, exec_lo
                                        ; implicit-def: $vgpr8_vgpr9
	v_cmpx_ne_u32_e64 v10, v4
	s_xor_b32 s17, exec_lo, s17
	s_cbranch_execz .LBB30_11
; %bb.10:                               ;   in Loop: Header=BB30_7 Depth=2
	v_ashrrev_i32_e32 v6, 31, v4
	v_mul_lo_u32 v7, s21, v4
	v_mad_u64_u32 v[4:5], null, s20, v4, 0
	v_mul_lo_u32 v6, s20, v6
	v_add3_u32 v5, v5, v6, v7
	v_lshlrev_b64 v[4:5], 4, v[4:5]
	v_add_co_u32 v4, s2, v19, v4
	v_add_co_ci_u32_e64 v5, null, v20, v5, s2
	global_load_dwordx4 v[6:9], v[4:5], off
.LBB30_11:                              ;   in Loop: Header=BB30_7 Depth=2
	s_andn2_saveexec_b32 s2, s17
	s_cbranch_execz .LBB30_13
; %bb.12:                               ;   in Loop: Header=BB30_7 Depth=2
	global_load_dwordx2 v[6:7], v[11:12], off
	s_waitcnt vmcnt(1)
	v_mov_b32_e32 v8, 0
	v_mov_b32_e32 v9, 0
.LBB30_13:                              ;   in Loop: Header=BB30_7 Depth=2
	s_or_b32 exec_lo, exec_lo, s2
                                        ; implicit-def: $vgpr4
.LBB30_14:                              ;   in Loop: Header=BB30_7 Depth=2
	s_andn2_saveexec_b32 s3, s3
	s_cbranch_execz .LBB30_16
; %bb.15:                               ;   in Loop: Header=BB30_7 Depth=2
	v_ashrrev_i32_e32 v5, 31, v4
	v_lshlrev_b64 v[4:5], 4, v[4:5]
	v_add_co_u32 v4, s2, v21, v4
	v_add_co_ci_u32_e64 v5, null, v22, v5, s2
	global_load_dwordx4 v[6:9], v[4:5], off
	s_waitcnt vmcnt(0)
	v_xor_b32_e32 v9, 0x80000000, v9
.LBB30_16:                              ;   in Loop: Header=BB30_7 Depth=2
	s_or_b32 exec_lo, exec_lo, s3
.LBB30_17:                              ;   in Loop: Header=BB30_7 Depth=2
	s_or_b32 exec_lo, exec_lo, s16
	v_add_nc_u32_e32 v15, s11, v0
	v_mov_b32_e32 v4, 0
	v_mov_b32_e32 v5, 0
	s_waitcnt vmcnt(0)
	ds_write_b128 v23, v[6:9]
	v_cmp_gt_i32_e64 s2, s29, v15
	s_and_b32 s2, s2, vcc_lo
	s_and_saveexec_b32 s3, s2
	s_cbranch_execz .LBB30_19
; %bb.18:                               ;   in Loop: Header=BB30_7 Depth=2
	v_ashrrev_i32_e32 v16, 31, v15
	v_lshlrev_b64 v[2:3], 4, v[15:16]
	v_add_co_u32 v2, s2, v27, v2
	v_add_co_ci_u32_e64 v3, null, v28, v3, s2
	global_load_dwordx4 v[2:5], v[2:3], off
.LBB30_19:                              ;   in Loop: Header=BB30_7 Depth=2
	s_or_b32 exec_lo, exec_lo, s3
	s_waitcnt vmcnt(0)
	ds_write_b128 v24, v[2:5]
	s_waitcnt lgkmcnt(0)
	s_barrier
	buffer_gl0_inv
	s_and_saveexec_b32 s2, s10
	s_cbranch_execz .LBB30_6
; %bb.20:                               ;   in Loop: Header=BB30_7 Depth=2
	v_mov_b32_e32 v2, 0
	v_mov_b32_e32 v4, 0
	;; [unrolled: 1-line block ×5, first 2 shown]
	s_mov_b32 s3, 0
.LBB30_21:                              ;   Parent Loop BB30_4 Depth=1
                                        ;     Parent Loop BB30_7 Depth=2
                                        ; =>    This Inner Loop Header: Depth=3
	v_add_nc_u32_e32 v9, s3, v17
	s_addk_i32 s3, 0x80
	ds_read_b128 v[29:32], v6
	ds_read_b128 v[33:36], v9
	ds_read_b128 v[37:40], v6 offset:512
	ds_read_b128 v[41:44], v9 offset:16
	;; [unrolled: 1-line block ×3, first 2 shown]
	s_cmpk_eq_i32 s3, 0x200
	s_waitcnt lgkmcnt(3)
	v_mul_f64 v[7:8], v[31:32], v[35:36]
	v_mul_f64 v[15:16], v[29:30], v[35:36]
	s_waitcnt lgkmcnt(1)
	v_mul_f64 v[53:54], v[39:40], v[43:44]
	v_mul_f64 v[43:44], v[37:38], v[43:44]
	v_fma_f64 v[7:8], v[29:30], v[33:34], -v[7:8]
	v_fma_f64 v[15:16], v[31:32], v[33:34], v[15:16]
	ds_read_b128 v[29:32], v9 offset:32
	ds_read_b128 v[33:36], v6 offset:1536
	;; [unrolled: 1-line block ×3, first 2 shown]
	v_fma_f64 v[37:38], v[37:38], v[41:42], -v[53:54]
	v_fma_f64 v[39:40], v[39:40], v[41:42], v[43:44]
	s_waitcnt lgkmcnt(2)
	v_mul_f64 v[55:56], v[47:48], v[31:32]
	v_mul_f64 v[31:32], v[45:46], v[31:32]
	v_add_f64 v[7:8], v[2:3], v[7:8]
	v_add_f64 v[15:16], v[4:5], v[15:16]
	s_waitcnt lgkmcnt(0)
	v_mul_f64 v[53:54], v[35:36], v[51:52]
	v_mul_f64 v[51:52], v[33:34], v[51:52]
	ds_read_b128 v[2:5], v6 offset:2048
	v_fma_f64 v[45:46], v[45:46], v[29:30], -v[55:56]
	v_fma_f64 v[47:48], v[47:48], v[29:30], v[31:32]
	v_add_f64 v[7:8], v[7:8], v[37:38]
	v_add_f64 v[15:16], v[15:16], v[39:40]
	ds_read_b128 v[29:32], v9 offset:64
	ds_read_b128 v[37:40], v6 offset:2560
	;; [unrolled: 1-line block ×3, first 2 shown]
	v_fma_f64 v[53:54], v[33:34], v[49:50], -v[53:54]
	v_fma_f64 v[35:36], v[35:36], v[49:50], v[51:52]
	s_waitcnt lgkmcnt(2)
	v_mul_f64 v[55:56], v[4:5], v[31:32]
	v_mul_f64 v[57:58], v[2:3], v[31:32]
	v_add_f64 v[7:8], v[7:8], v[45:46]
	v_add_f64 v[15:16], v[15:16], v[47:48]
	s_waitcnt lgkmcnt(0)
	v_mul_f64 v[51:52], v[39:40], v[43:44]
	v_mul_f64 v[59:60], v[37:38], v[43:44]
	ds_read_b128 v[31:34], v6 offset:3072
	v_fma_f64 v[55:56], v[2:3], v[29:30], -v[55:56]
	v_fma_f64 v[29:30], v[4:5], v[29:30], v[57:58]
	v_add_f64 v[7:8], v[7:8], v[53:54]
	v_add_f64 v[15:16], v[15:16], v[35:36]
	ds_read_b128 v[2:5], v9 offset:96
	ds_read_b128 v[43:46], v6 offset:3584
	ds_read_b128 v[47:50], v9 offset:112
	v_fma_f64 v[37:38], v[37:38], v[41:42], -v[51:52]
	v_fma_f64 v[39:40], v[39:40], v[41:42], v[59:60]
	v_add_nc_u32_e32 v6, 0x1000, v6
	s_waitcnt lgkmcnt(2)
	v_mul_f64 v[35:36], v[33:34], v[4:5]
	v_mul_f64 v[4:5], v[31:32], v[4:5]
	v_add_f64 v[7:8], v[7:8], v[55:56]
	v_add_f64 v[15:16], v[15:16], v[29:30]
	s_waitcnt lgkmcnt(0)
	v_mul_f64 v[29:30], v[45:46], v[49:50]
	v_mul_f64 v[41:42], v[43:44], v[49:50]
	v_fma_f64 v[31:32], v[31:32], v[2:3], -v[35:36]
	v_fma_f64 v[2:3], v[33:34], v[2:3], v[4:5]
	v_add_f64 v[4:5], v[7:8], v[37:38]
	v_add_f64 v[7:8], v[15:16], v[39:40]
	v_fma_f64 v[15:16], v[43:44], v[47:48], -v[29:30]
	v_fma_f64 v[29:30], v[45:46], v[47:48], v[41:42]
	v_add_f64 v[4:5], v[4:5], v[31:32]
	v_add_f64 v[7:8], v[7:8], v[2:3]
	;; [unrolled: 1-line block ×4, first 2 shown]
	s_cbranch_scc0 .LBB30_21
; %bb.22:                               ;   in Loop: Header=BB30_7 Depth=2
	global_load_dwordx4 v[6:9], v[13:14], off
	v_mul_f64 v[15:16], s[14:15], v[4:5]
	v_mul_f64 v[29:30], s[14:15], v[2:3]
	v_fma_f64 v[2:3], s[12:13], v[2:3], -v[15:16]
	v_fma_f64 v[4:5], s[12:13], v[4:5], v[29:30]
	s_waitcnt vmcnt(0)
	v_add_f64 v[2:3], v[2:3], v[6:7]
	v_add_f64 v[4:5], v[4:5], v[8:9]
	global_store_dwordx4 v[13:14], v[2:5], off
	s_branch .LBB30_6
.LBB30_23:
	s_endpgm
	.section	.rodata,"a",@progbits
	.p2align	6, 0x0
	.amdhsa_kernel _ZL24rocblas_symm_hemm_kernelILb1ELb0ELi32E19rocblas_complex_numIdEPKS1_PS1_EvbiiT2_T3_lllS6_lllT4_llli
		.amdhsa_group_segment_fixed_size 32768
		.amdhsa_private_segment_fixed_size 0
		.amdhsa_kernarg_size 392
		.amdhsa_user_sgpr_count 6
		.amdhsa_user_sgpr_private_segment_buffer 1
		.amdhsa_user_sgpr_dispatch_ptr 0
		.amdhsa_user_sgpr_queue_ptr 0
		.amdhsa_user_sgpr_kernarg_segment_ptr 1
		.amdhsa_user_sgpr_dispatch_id 0
		.amdhsa_user_sgpr_flat_scratch_init 0
		.amdhsa_user_sgpr_private_segment_size 0
		.amdhsa_wavefront_size32 1
		.amdhsa_uses_dynamic_stack 0
		.amdhsa_system_sgpr_private_segment_wavefront_offset 0
		.amdhsa_system_sgpr_workgroup_id_x 1
		.amdhsa_system_sgpr_workgroup_id_y 1
		.amdhsa_system_sgpr_workgroup_id_z 1
		.amdhsa_system_sgpr_workgroup_info 0
		.amdhsa_system_vgpr_workitem_id 1
		.amdhsa_next_free_vgpr 61
		.amdhsa_next_free_sgpr 48
		.amdhsa_reserve_vcc 1
		.amdhsa_reserve_flat_scratch 0
		.amdhsa_float_round_mode_32 0
		.amdhsa_float_round_mode_16_64 0
		.amdhsa_float_denorm_mode_32 3
		.amdhsa_float_denorm_mode_16_64 3
		.amdhsa_dx10_clamp 1
		.amdhsa_ieee_mode 1
		.amdhsa_fp16_overflow 0
		.amdhsa_workgroup_processor_mode 1
		.amdhsa_memory_ordered 1
		.amdhsa_forward_progress 1
		.amdhsa_shared_vgpr_count 0
		.amdhsa_exception_fp_ieee_invalid_op 0
		.amdhsa_exception_fp_denorm_src 0
		.amdhsa_exception_fp_ieee_div_zero 0
		.amdhsa_exception_fp_ieee_overflow 0
		.amdhsa_exception_fp_ieee_underflow 0
		.amdhsa_exception_fp_ieee_inexact 0
		.amdhsa_exception_int_div_zero 0
	.end_amdhsa_kernel
	.section	.text._ZL24rocblas_symm_hemm_kernelILb1ELb0ELi32E19rocblas_complex_numIdEPKS1_PS1_EvbiiT2_T3_lllS6_lllT4_llli,"axG",@progbits,_ZL24rocblas_symm_hemm_kernelILb1ELb0ELi32E19rocblas_complex_numIdEPKS1_PS1_EvbiiT2_T3_lllS6_lllT4_llli,comdat
.Lfunc_end30:
	.size	_ZL24rocblas_symm_hemm_kernelILb1ELb0ELi32E19rocblas_complex_numIdEPKS1_PS1_EvbiiT2_T3_lllS6_lllT4_llli, .Lfunc_end30-_ZL24rocblas_symm_hemm_kernelILb1ELb0ELi32E19rocblas_complex_numIdEPKS1_PS1_EvbiiT2_T3_lllS6_lllT4_llli
                                        ; -- End function
	.set _ZL24rocblas_symm_hemm_kernelILb1ELb0ELi32E19rocblas_complex_numIdEPKS1_PS1_EvbiiT2_T3_lllS6_lllT4_llli.num_vgpr, 61
	.set _ZL24rocblas_symm_hemm_kernelILb1ELb0ELi32E19rocblas_complex_numIdEPKS1_PS1_EvbiiT2_T3_lllS6_lllT4_llli.num_agpr, 0
	.set _ZL24rocblas_symm_hemm_kernelILb1ELb0ELi32E19rocblas_complex_numIdEPKS1_PS1_EvbiiT2_T3_lllS6_lllT4_llli.numbered_sgpr, 48
	.set _ZL24rocblas_symm_hemm_kernelILb1ELb0ELi32E19rocblas_complex_numIdEPKS1_PS1_EvbiiT2_T3_lllS6_lllT4_llli.num_named_barrier, 0
	.set _ZL24rocblas_symm_hemm_kernelILb1ELb0ELi32E19rocblas_complex_numIdEPKS1_PS1_EvbiiT2_T3_lllS6_lllT4_llli.private_seg_size, 0
	.set _ZL24rocblas_symm_hemm_kernelILb1ELb0ELi32E19rocblas_complex_numIdEPKS1_PS1_EvbiiT2_T3_lllS6_lllT4_llli.uses_vcc, 1
	.set _ZL24rocblas_symm_hemm_kernelILb1ELb0ELi32E19rocblas_complex_numIdEPKS1_PS1_EvbiiT2_T3_lllS6_lllT4_llli.uses_flat_scratch, 0
	.set _ZL24rocblas_symm_hemm_kernelILb1ELb0ELi32E19rocblas_complex_numIdEPKS1_PS1_EvbiiT2_T3_lllS6_lllT4_llli.has_dyn_sized_stack, 0
	.set _ZL24rocblas_symm_hemm_kernelILb1ELb0ELi32E19rocblas_complex_numIdEPKS1_PS1_EvbiiT2_T3_lllS6_lllT4_llli.has_recursion, 0
	.set _ZL24rocblas_symm_hemm_kernelILb1ELb0ELi32E19rocblas_complex_numIdEPKS1_PS1_EvbiiT2_T3_lllS6_lllT4_llli.has_indirect_call, 0
	.section	.AMDGPU.csdata,"",@progbits
; Kernel info:
; codeLenInByte = 1680
; TotalNumSgprs: 50
; NumVgprs: 61
; ScratchSize: 0
; MemoryBound: 1
; FloatMode: 240
; IeeeMode: 1
; LDSByteSize: 32768 bytes/workgroup (compile time only)
; SGPRBlocks: 0
; VGPRBlocks: 7
; NumSGPRsForWavesPerEU: 50
; NumVGPRsForWavesPerEU: 61
; Occupancy: 16
; WaveLimiterHint : 0
; COMPUTE_PGM_RSRC2:SCRATCH_EN: 0
; COMPUTE_PGM_RSRC2:USER_SGPR: 6
; COMPUTE_PGM_RSRC2:TRAP_HANDLER: 0
; COMPUTE_PGM_RSRC2:TGID_X_EN: 1
; COMPUTE_PGM_RSRC2:TGID_Y_EN: 1
; COMPUTE_PGM_RSRC2:TGID_Z_EN: 1
; COMPUTE_PGM_RSRC2:TIDIG_COMP_CNT: 1
	.section	.text._ZL24rocblas_symm_hemm_kernelILb1ELb1ELi32E19rocblas_complex_numIdEPKS1_PS1_EvbiiT2_T3_lllS6_lllT4_llli,"axG",@progbits,_ZL24rocblas_symm_hemm_kernelILb1ELb1ELi32E19rocblas_complex_numIdEPKS1_PS1_EvbiiT2_T3_lllS6_lllT4_llli,comdat
	.globl	_ZL24rocblas_symm_hemm_kernelILb1ELb1ELi32E19rocblas_complex_numIdEPKS1_PS1_EvbiiT2_T3_lllS6_lllT4_llli ; -- Begin function _ZL24rocblas_symm_hemm_kernelILb1ELb1ELi32E19rocblas_complex_numIdEPKS1_PS1_EvbiiT2_T3_lllS6_lllT4_llli
	.p2align	8
	.type	_ZL24rocblas_symm_hemm_kernelILb1ELb1ELi32E19rocblas_complex_numIdEPKS1_PS1_EvbiiT2_T3_lllS6_lllT4_llli,@function
_ZL24rocblas_symm_hemm_kernelILb1ELb1ELi32E19rocblas_complex_numIdEPKS1_PS1_EvbiiT2_T3_lllS6_lllT4_llli: ; @_ZL24rocblas_symm_hemm_kernelILb1ELb1ELi32E19rocblas_complex_numIdEPKS1_PS1_EvbiiT2_T3_lllS6_lllT4_llli
; %bb.0:
	s_load_dwordx16 s[12:27], s[4:5], 0x10
	s_waitcnt lgkmcnt(0)
	v_cmp_eq_f64_e64 s0, s[12:13], 0
	v_cmp_eq_f64_e64 s1, s[14:15], 0
	s_and_b32 s0, s0, s1
	s_and_b32 vcc_lo, exec_lo, s0
	s_cbranch_vccnz .LBB31_23
; %bb.1:
	s_load_dwordx4 s[28:31], s[4:5], 0x0
	s_waitcnt lgkmcnt(0)
	s_add_i32 s0, s30, -1
	s_ashr_i32 s1, s0, 31
	s_lshr_b32 s1, s1, 27
	s_add_i32 s0, s0, s1
	s_ashr_i32 s3, s0, 5
	s_cmp_gt_i32 s7, s3
	s_cbranch_scc1 .LBB31_23
; %bb.2:
	s_clause 0x1
	s_load_dwordx4 s[44:47], s[4:5], 0x70
	s_load_dwordx8 s[36:43], s[4:5], 0x50
	s_mul_i32 s1, s23, s8
	s_mul_hi_u32 s2, s22, s8
	s_mul_i32 s0, s22, s8
	s_add_i32 s1, s2, s1
	v_lshl_add_u32 v2, s6, 5, v0
	s_lshl_b64 s[0:1], s[0:1], 4
	s_load_dword s4, s[4:5], 0x8c
	s_add_u32 s2, s16, s0
	s_addc_u32 s9, s17, s1
	s_lshl_b64 s[0:1], s[18:19], 4
	v_ashrrev_i32_e32 v3, 31, v2
	s_add_u32 s6, s2, s0
	s_addc_u32 s9, s9, s1
	s_bitcmp1_b32 s28, 0
	v_lshlrev_b32_e32 v5, 4, v1
	s_cselect_b32 s0, -1, 0
	v_lshlrev_b64 v[3:4], 4, v[2:3]
	v_lshlrev_b32_e32 v17, 9, v0
	s_waitcnt lgkmcnt(0)
	s_mul_i32 s1, s47, s8
	s_mul_hi_u32 s2, s46, s8
	s_mul_i32 s10, s46, s8
	s_add_i32 s11, s2, s1
	s_mul_i32 s1, s39, s8
	s_lshl_b64 s[10:11], s[10:11], 4
	s_mul_hi_u32 s2, s38, s8
	s_add_u32 s5, s40, s10
	s_addc_u32 s17, s41, s11
	s_lshl_b64 s[10:11], s[42:43], 4
	s_mul_i32 s16, s38, s8
	s_add_u32 s5, s5, s10
	s_addc_u32 s8, s17, s11
	s_add_i32 s17, s2, s1
	v_or_b32_e32 v18, 0x4000, v5
	s_lshl_b64 s[10:11], s[16:17], 4
	v_add_nc_u32_e32 v21, v17, v5
	s_add_u32 s1, s24, s10
	s_addc_u32 s2, s25, s11
	s_lshl_b64 s[10:11], s[26:27], 4
	v_add_nc_u32_e32 v22, v18, v17
	s_add_u32 s10, s1, s10
	s_addc_u32 s2, s2, s11
	v_add_co_u32 v19, vcc_lo, s10, v3
	v_add_co_ci_u32_e64 v20, null, s2, v4, vcc_lo
	v_add_co_u32 v23, vcc_lo, s5, v3
	v_cmp_gt_i32_e64 s1, s29, v2
	v_add_co_ci_u32_e64 v24, null, s8, v4, vcc_lo
	s_cmp_gt_i32 s30, 0
	s_cselect_b32 s5, -1, 0
	s_branch .LBB31_4
.LBB31_3:                               ;   in Loop: Header=BB31_4 Depth=1
	s_add_i32 s7, s7, s4
	s_cmp_gt_i32 s7, s3
	s_cbranch_scc1 .LBB31_23
.LBB31_4:                               ; =>This Loop Header: Depth=1
                                        ;     Child Loop BB31_7 Depth 2
                                        ;       Child Loop BB31_21 Depth 3
	s_andn2_b32 vcc_lo, exec_lo, s5
	s_cbranch_vccnz .LBB31_3
; %bb.5:                                ;   in Loop: Header=BB31_4 Depth=1
	v_lshl_add_u32 v10, s7, 5, v1
	s_mov_b32 s10, 0
	v_ashrrev_i32_e32 v11, 31, v10
	v_mul_lo_u32 v6, s21, v10
	v_mad_u64_u32 v[2:3], null, s20, v10, 0
	v_mul_lo_u32 v8, s45, v10
	v_mul_lo_u32 v7, s20, v11
	v_mad_u64_u32 v[4:5], null, s44, v10, 0
	v_mul_lo_u32 v9, s44, v11
	v_cmp_gt_i32_e32 vcc_lo, s30, v10
	v_add3_u32 v3, v3, v7, v6
	v_lshlrev_b64 v[6:7], 4, v[10:11]
	s_and_b32 s8, s1, vcc_lo
	v_add3_u32 v5, v5, v9, v8
	v_lshlrev_b64 v[2:3], 4, v[2:3]
	v_add_co_u32 v25, s2, s6, v6
	v_lshlrev_b64 v[4:5], 4, v[4:5]
	v_add_co_ci_u32_e64 v26, null, s9, v7, s2
	v_add_co_u32 v27, s2, s6, v2
	v_add_co_ci_u32_e64 v28, null, s9, v3, s2
	v_add_co_u32 v11, s2, v23, v4
	;; [unrolled: 2-line block ×3, first 2 shown]
	v_add_co_ci_u32_e64 v14, null, v28, v7, s2
	s_branch .LBB31_7
.LBB31_6:                               ;   in Loop: Header=BB31_7 Depth=2
	s_or_b32 exec_lo, exec_lo, s2
	s_add_i32 s10, s10, 32
	s_waitcnt_vscnt null, 0x0
	s_cmp_ge_i32 s10, s30
	s_barrier
	buffer_gl0_inv
	s_cbranch_scc1 .LBB31_3
.LBB31_7:                               ;   Parent Loop BB31_4 Depth=1
                                        ; =>  This Loop Header: Depth=2
                                        ;       Child Loop BB31_21 Depth 3
	v_add_nc_u32_e32 v4, s10, v1
	v_mov_b32_e32 v2, 0
	v_mov_b32_e32 v6, 0
	;; [unrolled: 1-line block ×4, first 2 shown]
	v_cmp_gt_i32_e32 vcc_lo, s30, v4
	v_mov_b32_e32 v7, 0
	v_mov_b32_e32 v9, 0
	s_and_b32 s11, s1, vcc_lo
	s_and_saveexec_b32 s2, s11
	s_cbranch_execz .LBB31_9
; %bb.8:                                ;   in Loop: Header=BB31_7 Depth=2
	v_ashrrev_i32_e32 v6, 31, v4
	v_mul_lo_u32 v7, s37, v4
	v_mad_u64_u32 v[4:5], null, s36, v4, 0
	v_mul_lo_u32 v6, s36, v6
	v_add3_u32 v5, v5, v6, v7
	v_lshlrev_b64 v[4:5], 4, v[4:5]
	v_add_co_u32 v4, vcc_lo, v19, v4
	v_add_co_ci_u32_e64 v5, null, v20, v5, vcc_lo
	global_load_dwordx4 v[6:9], v[4:5], off
.LBB31_9:                               ;   in Loop: Header=BB31_7 Depth=2
	s_or_b32 exec_lo, exec_lo, s2
	v_add_nc_u32_e32 v15, s10, v0
	s_mov_b32 s11, exec_lo
	s_waitcnt vmcnt(0)
	ds_write_b128 v21, v[6:9]
	v_cndmask_b32_e64 v4, v10, v15, s0
	v_cndmask_b32_e64 v5, v15, v10, s0
	v_cmp_gt_i32_e32 vcc_lo, v4, v5
	v_cndmask_b32_e32 v16, v15, v10, vcc_lo
	v_cndmask_b32_e32 v29, v10, v15, vcc_lo
	v_cmp_le_i32_e32 vcc_lo, v4, v5
	v_mov_b32_e32 v4, 0
	v_mov_b32_e32 v5, 0
	v_max_i32_e32 v16, v16, v29
	v_cmpx_gt_i32_e64 s30, v16
	s_cbranch_execz .LBB31_19
; %bb.10:                               ;   in Loop: Header=BB31_7 Depth=2
                                        ; implicit-def: $vgpr4_vgpr5
	s_and_saveexec_b32 s2, vcc_lo
	s_xor_b32 s2, exec_lo, s2
	s_cbranch_execz .LBB31_16
; %bb.11:                               ;   in Loop: Header=BB31_7 Depth=2
	s_mov_b32 s16, exec_lo
                                        ; implicit-def: $vgpr4_vgpr5
	v_cmpx_ne_u32_e64 v15, v10
	s_xor_b32 s16, exec_lo, s16
	s_cbranch_execz .LBB31_13
; %bb.12:                               ;   in Loop: Header=BB31_7 Depth=2
	v_ashrrev_i32_e32 v16, 31, v15
	v_lshlrev_b64 v[2:3], 4, v[15:16]
	v_add_co_u32 v2, vcc_lo, v27, v2
	v_add_co_ci_u32_e64 v3, null, v28, v3, vcc_lo
	global_load_dwordx4 v[2:5], v[2:3], off
.LBB31_13:                              ;   in Loop: Header=BB31_7 Depth=2
	s_andn2_saveexec_b32 s16, s16
	s_cbranch_execz .LBB31_15
; %bb.14:                               ;   in Loop: Header=BB31_7 Depth=2
	global_load_dwordx2 v[2:3], v[13:14], off
	s_waitcnt vmcnt(1)
	v_mov_b32_e32 v4, 0
	v_mov_b32_e32 v5, 0
.LBB31_15:                              ;   in Loop: Header=BB31_7 Depth=2
	s_or_b32 exec_lo, exec_lo, s16
                                        ; implicit-def: $vgpr15
.LBB31_16:                              ;   in Loop: Header=BB31_7 Depth=2
	s_andn2_saveexec_b32 s2, s2
	s_cbranch_execz .LBB31_18
; %bb.17:                               ;   in Loop: Header=BB31_7 Depth=2
	s_waitcnt vmcnt(0)
	v_ashrrev_i32_e32 v4, 31, v15
	v_mul_lo_u32 v5, s21, v15
	v_mad_u64_u32 v[2:3], null, s20, v15, 0
	v_mul_lo_u32 v4, s20, v4
	v_add3_u32 v3, v3, v4, v5
	v_lshlrev_b64 v[2:3], 4, v[2:3]
	v_add_co_u32 v2, vcc_lo, v25, v2
	v_add_co_ci_u32_e64 v3, null, v26, v3, vcc_lo
	global_load_dwordx4 v[2:5], v[2:3], off
	s_waitcnt vmcnt(0)
	v_xor_b32_e32 v5, 0x80000000, v5
.LBB31_18:                              ;   in Loop: Header=BB31_7 Depth=2
	s_or_b32 exec_lo, exec_lo, s2
.LBB31_19:                              ;   in Loop: Header=BB31_7 Depth=2
	s_or_b32 exec_lo, exec_lo, s11
	s_waitcnt vmcnt(0)
	ds_write_b128 v22, v[2:5]
	s_waitcnt lgkmcnt(0)
	s_barrier
	buffer_gl0_inv
	s_and_saveexec_b32 s2, s8
	s_cbranch_execz .LBB31_6
; %bb.20:                               ;   in Loop: Header=BB31_7 Depth=2
	v_mov_b32_e32 v2, 0
	v_mov_b32_e32 v4, 0
	;; [unrolled: 1-line block ×5, first 2 shown]
	s_mov_b32 s11, 0
.LBB31_21:                              ;   Parent Loop BB31_4 Depth=1
                                        ;     Parent Loop BB31_7 Depth=2
                                        ; =>    This Inner Loop Header: Depth=3
	v_add_nc_u32_e32 v9, s11, v17
	s_addk_i32 s11, 0x80
	ds_read_b128 v[29:32], v6
	ds_read_b128 v[33:36], v9
	ds_read_b128 v[37:40], v6 offset:512
	ds_read_b128 v[41:44], v9 offset:16
	;; [unrolled: 1-line block ×3, first 2 shown]
	s_cmpk_eq_i32 s11, 0x200
	s_waitcnt lgkmcnt(3)
	v_mul_f64 v[7:8], v[31:32], v[35:36]
	v_mul_f64 v[15:16], v[29:30], v[35:36]
	s_waitcnt lgkmcnt(1)
	v_mul_f64 v[53:54], v[39:40], v[43:44]
	v_mul_f64 v[43:44], v[37:38], v[43:44]
	v_fma_f64 v[7:8], v[29:30], v[33:34], -v[7:8]
	v_fma_f64 v[15:16], v[31:32], v[33:34], v[15:16]
	ds_read_b128 v[29:32], v9 offset:32
	ds_read_b128 v[33:36], v6 offset:1536
	ds_read_b128 v[49:52], v9 offset:48
	v_fma_f64 v[37:38], v[37:38], v[41:42], -v[53:54]
	v_fma_f64 v[39:40], v[39:40], v[41:42], v[43:44]
	s_waitcnt lgkmcnt(2)
	v_mul_f64 v[55:56], v[47:48], v[31:32]
	v_mul_f64 v[31:32], v[45:46], v[31:32]
	v_add_f64 v[7:8], v[2:3], v[7:8]
	v_add_f64 v[15:16], v[4:5], v[15:16]
	s_waitcnt lgkmcnt(0)
	v_mul_f64 v[53:54], v[35:36], v[51:52]
	v_mul_f64 v[51:52], v[33:34], v[51:52]
	ds_read_b128 v[2:5], v6 offset:2048
	v_fma_f64 v[45:46], v[45:46], v[29:30], -v[55:56]
	v_fma_f64 v[47:48], v[47:48], v[29:30], v[31:32]
	v_add_f64 v[7:8], v[7:8], v[37:38]
	v_add_f64 v[15:16], v[15:16], v[39:40]
	ds_read_b128 v[29:32], v9 offset:64
	ds_read_b128 v[37:40], v6 offset:2560
	;; [unrolled: 1-line block ×3, first 2 shown]
	v_fma_f64 v[53:54], v[33:34], v[49:50], -v[53:54]
	v_fma_f64 v[35:36], v[35:36], v[49:50], v[51:52]
	s_waitcnt lgkmcnt(2)
	v_mul_f64 v[55:56], v[4:5], v[31:32]
	v_mul_f64 v[57:58], v[2:3], v[31:32]
	v_add_f64 v[7:8], v[7:8], v[45:46]
	v_add_f64 v[15:16], v[15:16], v[47:48]
	s_waitcnt lgkmcnt(0)
	v_mul_f64 v[51:52], v[39:40], v[43:44]
	v_mul_f64 v[59:60], v[37:38], v[43:44]
	ds_read_b128 v[31:34], v6 offset:3072
	v_fma_f64 v[55:56], v[2:3], v[29:30], -v[55:56]
	v_fma_f64 v[29:30], v[4:5], v[29:30], v[57:58]
	v_add_f64 v[7:8], v[7:8], v[53:54]
	v_add_f64 v[15:16], v[15:16], v[35:36]
	ds_read_b128 v[2:5], v9 offset:96
	ds_read_b128 v[43:46], v6 offset:3584
	ds_read_b128 v[47:50], v9 offset:112
	v_fma_f64 v[37:38], v[37:38], v[41:42], -v[51:52]
	v_fma_f64 v[39:40], v[39:40], v[41:42], v[59:60]
	v_add_nc_u32_e32 v6, 0x1000, v6
	s_waitcnt lgkmcnt(2)
	v_mul_f64 v[35:36], v[33:34], v[4:5]
	v_mul_f64 v[4:5], v[31:32], v[4:5]
	v_add_f64 v[7:8], v[7:8], v[55:56]
	v_add_f64 v[15:16], v[15:16], v[29:30]
	s_waitcnt lgkmcnt(0)
	v_mul_f64 v[29:30], v[45:46], v[49:50]
	v_mul_f64 v[41:42], v[43:44], v[49:50]
	v_fma_f64 v[31:32], v[31:32], v[2:3], -v[35:36]
	v_fma_f64 v[2:3], v[33:34], v[2:3], v[4:5]
	v_add_f64 v[4:5], v[7:8], v[37:38]
	v_add_f64 v[7:8], v[15:16], v[39:40]
	v_fma_f64 v[15:16], v[43:44], v[47:48], -v[29:30]
	v_fma_f64 v[29:30], v[45:46], v[47:48], v[41:42]
	v_add_f64 v[4:5], v[4:5], v[31:32]
	v_add_f64 v[7:8], v[7:8], v[2:3]
	;; [unrolled: 1-line block ×4, first 2 shown]
	s_cbranch_scc0 .LBB31_21
; %bb.22:                               ;   in Loop: Header=BB31_7 Depth=2
	global_load_dwordx4 v[6:9], v[11:12], off
	v_mul_f64 v[15:16], s[14:15], v[4:5]
	v_mul_f64 v[29:30], s[14:15], v[2:3]
	v_fma_f64 v[2:3], s[12:13], v[2:3], -v[15:16]
	v_fma_f64 v[4:5], s[12:13], v[4:5], v[29:30]
	s_waitcnt vmcnt(0)
	v_add_f64 v[2:3], v[2:3], v[6:7]
	v_add_f64 v[4:5], v[4:5], v[8:9]
	global_store_dwordx4 v[11:12], v[2:5], off
	s_branch .LBB31_6
.LBB31_23:
	s_endpgm
	.section	.rodata,"a",@progbits
	.p2align	6, 0x0
	.amdhsa_kernel _ZL24rocblas_symm_hemm_kernelILb1ELb1ELi32E19rocblas_complex_numIdEPKS1_PS1_EvbiiT2_T3_lllS6_lllT4_llli
		.amdhsa_group_segment_fixed_size 32768
		.amdhsa_private_segment_fixed_size 0
		.amdhsa_kernarg_size 392
		.amdhsa_user_sgpr_count 6
		.amdhsa_user_sgpr_private_segment_buffer 1
		.amdhsa_user_sgpr_dispatch_ptr 0
		.amdhsa_user_sgpr_queue_ptr 0
		.amdhsa_user_sgpr_kernarg_segment_ptr 1
		.amdhsa_user_sgpr_dispatch_id 0
		.amdhsa_user_sgpr_flat_scratch_init 0
		.amdhsa_user_sgpr_private_segment_size 0
		.amdhsa_wavefront_size32 1
		.amdhsa_uses_dynamic_stack 0
		.amdhsa_system_sgpr_private_segment_wavefront_offset 0
		.amdhsa_system_sgpr_workgroup_id_x 1
		.amdhsa_system_sgpr_workgroup_id_y 1
		.amdhsa_system_sgpr_workgroup_id_z 1
		.amdhsa_system_sgpr_workgroup_info 0
		.amdhsa_system_vgpr_workitem_id 1
		.amdhsa_next_free_vgpr 61
		.amdhsa_next_free_sgpr 48
		.amdhsa_reserve_vcc 1
		.amdhsa_reserve_flat_scratch 0
		.amdhsa_float_round_mode_32 0
		.amdhsa_float_round_mode_16_64 0
		.amdhsa_float_denorm_mode_32 3
		.amdhsa_float_denorm_mode_16_64 3
		.amdhsa_dx10_clamp 1
		.amdhsa_ieee_mode 1
		.amdhsa_fp16_overflow 0
		.amdhsa_workgroup_processor_mode 1
		.amdhsa_memory_ordered 1
		.amdhsa_forward_progress 1
		.amdhsa_shared_vgpr_count 0
		.amdhsa_exception_fp_ieee_invalid_op 0
		.amdhsa_exception_fp_denorm_src 0
		.amdhsa_exception_fp_ieee_div_zero 0
		.amdhsa_exception_fp_ieee_overflow 0
		.amdhsa_exception_fp_ieee_underflow 0
		.amdhsa_exception_fp_ieee_inexact 0
		.amdhsa_exception_int_div_zero 0
	.end_amdhsa_kernel
	.section	.text._ZL24rocblas_symm_hemm_kernelILb1ELb1ELi32E19rocblas_complex_numIdEPKS1_PS1_EvbiiT2_T3_lllS6_lllT4_llli,"axG",@progbits,_ZL24rocblas_symm_hemm_kernelILb1ELb1ELi32E19rocblas_complex_numIdEPKS1_PS1_EvbiiT2_T3_lllS6_lllT4_llli,comdat
.Lfunc_end31:
	.size	_ZL24rocblas_symm_hemm_kernelILb1ELb1ELi32E19rocblas_complex_numIdEPKS1_PS1_EvbiiT2_T3_lllS6_lllT4_llli, .Lfunc_end31-_ZL24rocblas_symm_hemm_kernelILb1ELb1ELi32E19rocblas_complex_numIdEPKS1_PS1_EvbiiT2_T3_lllS6_lllT4_llli
                                        ; -- End function
	.set _ZL24rocblas_symm_hemm_kernelILb1ELb1ELi32E19rocblas_complex_numIdEPKS1_PS1_EvbiiT2_T3_lllS6_lllT4_llli.num_vgpr, 61
	.set _ZL24rocblas_symm_hemm_kernelILb1ELb1ELi32E19rocblas_complex_numIdEPKS1_PS1_EvbiiT2_T3_lllS6_lllT4_llli.num_agpr, 0
	.set _ZL24rocblas_symm_hemm_kernelILb1ELb1ELi32E19rocblas_complex_numIdEPKS1_PS1_EvbiiT2_T3_lllS6_lllT4_llli.numbered_sgpr, 48
	.set _ZL24rocblas_symm_hemm_kernelILb1ELb1ELi32E19rocblas_complex_numIdEPKS1_PS1_EvbiiT2_T3_lllS6_lllT4_llli.num_named_barrier, 0
	.set _ZL24rocblas_symm_hemm_kernelILb1ELb1ELi32E19rocblas_complex_numIdEPKS1_PS1_EvbiiT2_T3_lllS6_lllT4_llli.private_seg_size, 0
	.set _ZL24rocblas_symm_hemm_kernelILb1ELb1ELi32E19rocblas_complex_numIdEPKS1_PS1_EvbiiT2_T3_lllS6_lllT4_llli.uses_vcc, 1
	.set _ZL24rocblas_symm_hemm_kernelILb1ELb1ELi32E19rocblas_complex_numIdEPKS1_PS1_EvbiiT2_T3_lllS6_lllT4_llli.uses_flat_scratch, 0
	.set _ZL24rocblas_symm_hemm_kernelILb1ELb1ELi32E19rocblas_complex_numIdEPKS1_PS1_EvbiiT2_T3_lllS6_lllT4_llli.has_dyn_sized_stack, 0
	.set _ZL24rocblas_symm_hemm_kernelILb1ELb1ELi32E19rocblas_complex_numIdEPKS1_PS1_EvbiiT2_T3_lllS6_lllT4_llli.has_recursion, 0
	.set _ZL24rocblas_symm_hemm_kernelILb1ELb1ELi32E19rocblas_complex_numIdEPKS1_PS1_EvbiiT2_T3_lllS6_lllT4_llli.has_indirect_call, 0
	.section	.AMDGPU.csdata,"",@progbits
; Kernel info:
; codeLenInByte = 1664
; TotalNumSgprs: 50
; NumVgprs: 61
; ScratchSize: 0
; MemoryBound: 1
; FloatMode: 240
; IeeeMode: 1
; LDSByteSize: 32768 bytes/workgroup (compile time only)
; SGPRBlocks: 0
; VGPRBlocks: 7
; NumSGPRsForWavesPerEU: 50
; NumVGPRsForWavesPerEU: 61
; Occupancy: 16
; WaveLimiterHint : 0
; COMPUTE_PGM_RSRC2:SCRATCH_EN: 0
; COMPUTE_PGM_RSRC2:USER_SGPR: 6
; COMPUTE_PGM_RSRC2:TRAP_HANDLER: 0
; COMPUTE_PGM_RSRC2:TGID_X_EN: 1
; COMPUTE_PGM_RSRC2:TGID_Y_EN: 1
; COMPUTE_PGM_RSRC2:TGID_Z_EN: 1
; COMPUTE_PGM_RSRC2:TIDIG_COMP_CNT: 1
	.section	.text._ZL25rocblas_symm_scale_kernelILi128ELi8EPKfPKPfEviiT1_T2_llli,"axG",@progbits,_ZL25rocblas_symm_scale_kernelILi128ELi8EPKfPKPfEviiT1_T2_llli,comdat
	.globl	_ZL25rocblas_symm_scale_kernelILi128ELi8EPKfPKPfEviiT1_T2_llli ; -- Begin function _ZL25rocblas_symm_scale_kernelILi128ELi8EPKfPKPfEviiT1_T2_llli
	.p2align	8
	.type	_ZL25rocblas_symm_scale_kernelILi128ELi8EPKfPKPfEviiT1_T2_llli,@function
_ZL25rocblas_symm_scale_kernelILi128ELi8EPKfPKPfEviiT1_T2_llli: ; @_ZL25rocblas_symm_scale_kernelILi128ELi8EPKfPKPfEviiT1_T2_llli
; %bb.0:
	s_load_dwordx8 s[12:19], s[4:5], 0x8
	s_waitcnt lgkmcnt(0)
	s_load_dword s1, s[12:13], 0x0
	s_waitcnt lgkmcnt(0)
	v_cmp_eq_f32_e64 s0, s1, 1.0
	s_and_b32 vcc_lo, exec_lo, s0
	s_cbranch_vccnz .LBB32_7
; %bb.1:
	s_load_dwordx2 s[10:11], s[4:5], 0x0
	v_lshl_add_u32 v1, s7, 3, v1
	v_mov_b32_e32 v2, 0
	v_lshl_add_u32 v3, s6, 7, v0
	s_waitcnt lgkmcnt(0)
	s_ashr_i32 s3, s11, 31
	s_mov_b32 s2, s11
	v_cmp_gt_u32_e64 s0, s10, v3
	v_cmp_gt_i64_e32 vcc_lo, s[2:3], v[1:2]
	s_and_b32 s0, s0, vcc_lo
	s_and_saveexec_b32 s6, s0
	s_cbranch_execz .LBB32_7
; %bb.2:
	v_mad_u64_u32 v[5:6], null, s18, v1, 0
	s_mov_b32 s9, 0
	s_load_dword s0, s[4:5], 0x3c
	s_lshl_b64 s[4:5], s[8:9], 3
	v_mov_b32_e32 v4, v2
	s_add_u32 s4, s14, s4
	s_addc_u32 s5, s15, s5
	v_mov_b32_e32 v0, v6
	s_load_dwordx2 s[4:5], s[4:5], 0x0
	s_lshl_b64 s[10:11], s[16:17], 2
	v_lshlrev_b64 v[3:4], 2, v[3:4]
	v_mad_u64_u32 v[6:7], null, s19, v1, v[0:1]
	v_lshlrev_b64 v[5:6], 2, v[5:6]
	s_waitcnt lgkmcnt(0)
	s_lshl_b32 s6, s0, 3
	s_mul_i32 s0, s19, s6
	s_mul_hi_u32 s7, s18, s6
	v_add_co_u32 v0, vcc_lo, v5, s10
	v_add_co_ci_u32_e64 v5, null, s11, v6, vcc_lo
	s_add_i32 s11, s7, s0
	v_add_co_u32 v0, vcc_lo, v0, v3
	v_add_co_ci_u32_e64 v4, null, v5, v4, vcc_lo
	v_cmp_neq_f32_e64 s7, s1, 0
	v_add_co_u32 v3, vcc_lo, s4, v0
	v_add_co_ci_u32_e64 v4, null, s5, v4, vcc_lo
	s_mul_i32 s10, s18, s6
	s_lshl_b64 s[4:5], s[10:11], 2
	s_branch .LBB32_5
	.p2align	6
.LBB32_3:                               ;   in Loop: Header=BB32_5 Depth=1
	flat_load_dword v0, v[3:4]
	s_waitcnt vmcnt(0) lgkmcnt(0)
	v_mul_f32_e32 v0, s1, v0
.LBB32_4:                               ;   in Loop: Header=BB32_5 Depth=1
	v_add_co_u32 v1, vcc_lo, v1, s6
	v_add_co_ci_u32_e64 v2, null, 0, v2, vcc_lo
	flat_store_dword v[3:4], v0
	v_add_co_u32 v3, s0, v3, s4
	v_cmp_le_i64_e32 vcc_lo, s[2:3], v[1:2]
	v_add_co_ci_u32_e64 v4, null, s5, v4, s0
	s_or_b32 s9, vcc_lo, s9
	s_andn2_b32 exec_lo, exec_lo, s9
	s_cbranch_execz .LBB32_7
.LBB32_5:                               ; =>This Inner Loop Header: Depth=1
	s_andn2_b32 vcc_lo, exec_lo, s7
	s_cbranch_vccz .LBB32_3
; %bb.6:                                ;   in Loop: Header=BB32_5 Depth=1
	v_mov_b32_e32 v0, 0
	s_branch .LBB32_4
.LBB32_7:
	s_endpgm
	.section	.rodata,"a",@progbits
	.p2align	6, 0x0
	.amdhsa_kernel _ZL25rocblas_symm_scale_kernelILi128ELi8EPKfPKPfEviiT1_T2_llli
		.amdhsa_group_segment_fixed_size 0
		.amdhsa_private_segment_fixed_size 0
		.amdhsa_kernarg_size 312
		.amdhsa_user_sgpr_count 6
		.amdhsa_user_sgpr_private_segment_buffer 1
		.amdhsa_user_sgpr_dispatch_ptr 0
		.amdhsa_user_sgpr_queue_ptr 0
		.amdhsa_user_sgpr_kernarg_segment_ptr 1
		.amdhsa_user_sgpr_dispatch_id 0
		.amdhsa_user_sgpr_flat_scratch_init 0
		.amdhsa_user_sgpr_private_segment_size 0
		.amdhsa_wavefront_size32 1
		.amdhsa_uses_dynamic_stack 0
		.amdhsa_system_sgpr_private_segment_wavefront_offset 0
		.amdhsa_system_sgpr_workgroup_id_x 1
		.amdhsa_system_sgpr_workgroup_id_y 1
		.amdhsa_system_sgpr_workgroup_id_z 1
		.amdhsa_system_sgpr_workgroup_info 0
		.amdhsa_system_vgpr_workitem_id 1
		.amdhsa_next_free_vgpr 8
		.amdhsa_next_free_sgpr 20
		.amdhsa_reserve_vcc 1
		.amdhsa_reserve_flat_scratch 0
		.amdhsa_float_round_mode_32 0
		.amdhsa_float_round_mode_16_64 0
		.amdhsa_float_denorm_mode_32 3
		.amdhsa_float_denorm_mode_16_64 3
		.amdhsa_dx10_clamp 1
		.amdhsa_ieee_mode 1
		.amdhsa_fp16_overflow 0
		.amdhsa_workgroup_processor_mode 1
		.amdhsa_memory_ordered 1
		.amdhsa_forward_progress 1
		.amdhsa_shared_vgpr_count 0
		.amdhsa_exception_fp_ieee_invalid_op 0
		.amdhsa_exception_fp_denorm_src 0
		.amdhsa_exception_fp_ieee_div_zero 0
		.amdhsa_exception_fp_ieee_overflow 0
		.amdhsa_exception_fp_ieee_underflow 0
		.amdhsa_exception_fp_ieee_inexact 0
		.amdhsa_exception_int_div_zero 0
	.end_amdhsa_kernel
	.section	.text._ZL25rocblas_symm_scale_kernelILi128ELi8EPKfPKPfEviiT1_T2_llli,"axG",@progbits,_ZL25rocblas_symm_scale_kernelILi128ELi8EPKfPKPfEviiT1_T2_llli,comdat
.Lfunc_end32:
	.size	_ZL25rocblas_symm_scale_kernelILi128ELi8EPKfPKPfEviiT1_T2_llli, .Lfunc_end32-_ZL25rocblas_symm_scale_kernelILi128ELi8EPKfPKPfEviiT1_T2_llli
                                        ; -- End function
	.set _ZL25rocblas_symm_scale_kernelILi128ELi8EPKfPKPfEviiT1_T2_llli.num_vgpr, 8
	.set _ZL25rocblas_symm_scale_kernelILi128ELi8EPKfPKPfEviiT1_T2_llli.num_agpr, 0
	.set _ZL25rocblas_symm_scale_kernelILi128ELi8EPKfPKPfEviiT1_T2_llli.numbered_sgpr, 20
	.set _ZL25rocblas_symm_scale_kernelILi128ELi8EPKfPKPfEviiT1_T2_llli.num_named_barrier, 0
	.set _ZL25rocblas_symm_scale_kernelILi128ELi8EPKfPKPfEviiT1_T2_llli.private_seg_size, 0
	.set _ZL25rocblas_symm_scale_kernelILi128ELi8EPKfPKPfEviiT1_T2_llli.uses_vcc, 1
	.set _ZL25rocblas_symm_scale_kernelILi128ELi8EPKfPKPfEviiT1_T2_llli.uses_flat_scratch, 0
	.set _ZL25rocblas_symm_scale_kernelILi128ELi8EPKfPKPfEviiT1_T2_llli.has_dyn_sized_stack, 0
	.set _ZL25rocblas_symm_scale_kernelILi128ELi8EPKfPKPfEviiT1_T2_llli.has_recursion, 0
	.set _ZL25rocblas_symm_scale_kernelILi128ELi8EPKfPKPfEviiT1_T2_llli.has_indirect_call, 0
	.section	.AMDGPU.csdata,"",@progbits
; Kernel info:
; codeLenInByte = 412
; TotalNumSgprs: 22
; NumVgprs: 8
; ScratchSize: 0
; MemoryBound: 0
; FloatMode: 240
; IeeeMode: 1
; LDSByteSize: 0 bytes/workgroup (compile time only)
; SGPRBlocks: 0
; VGPRBlocks: 0
; NumSGPRsForWavesPerEU: 22
; NumVGPRsForWavesPerEU: 8
; Occupancy: 16
; WaveLimiterHint : 0
; COMPUTE_PGM_RSRC2:SCRATCH_EN: 0
; COMPUTE_PGM_RSRC2:USER_SGPR: 6
; COMPUTE_PGM_RSRC2:TRAP_HANDLER: 0
; COMPUTE_PGM_RSRC2:TGID_X_EN: 1
; COMPUTE_PGM_RSRC2:TGID_Y_EN: 1
; COMPUTE_PGM_RSRC2:TGID_Z_EN: 1
; COMPUTE_PGM_RSRC2:TIDIG_COMP_CNT: 1
	.section	.text._ZL24rocblas_symm_hemm_kernelILb0ELb0ELi32EPKfPKS1_PKPfEvbiiT2_T3_lllS8_lllT4_llli,"axG",@progbits,_ZL24rocblas_symm_hemm_kernelILb0ELb0ELi32EPKfPKS1_PKPfEvbiiT2_T3_lllS8_lllT4_llli,comdat
	.globl	_ZL24rocblas_symm_hemm_kernelILb0ELb0ELi32EPKfPKS1_PKPfEvbiiT2_T3_lllS8_lllT4_llli ; -- Begin function _ZL24rocblas_symm_hemm_kernelILb0ELb0ELi32EPKfPKS1_PKPfEvbiiT2_T3_lllS8_lllT4_llli
	.p2align	8
	.type	_ZL24rocblas_symm_hemm_kernelILb0ELb0ELi32EPKfPKS1_PKPfEvbiiT2_T3_lllS8_lllT4_llli,@function
_ZL24rocblas_symm_hemm_kernelILb0ELb0ELi32EPKfPKS1_PKPfEvbiiT2_T3_lllS8_lllT4_llli: ; @_ZL24rocblas_symm_hemm_kernelILb0ELb0ELi32EPKfPKS1_PKPfEvbiiT2_T3_lllS8_lllT4_llli
; %bb.0:
	s_load_dwordx8 s[12:19], s[4:5], 0x10
	s_waitcnt lgkmcnt(0)
	s_load_dword s12, s[12:13], 0x0
	s_waitcnt lgkmcnt(0)
	v_cmp_eq_f32_e64 s0, s12, 0
	s_and_b32 vcc_lo, exec_lo, s0
	s_cbranch_vccnz .LBB33_13
; %bb.1:
	s_load_dwordx4 s[20:23], s[4:5], 0x0
	s_waitcnt lgkmcnt(0)
	s_add_i32 s0, s22, -1
	s_ashr_i32 s1, s0, 31
	s_lshr_b32 s1, s1, 27
	s_add_i32 s0, s0, s1
	s_ashr_i32 s13, s0, 5
	s_cmp_gt_i32 s7, s13
	s_cbranch_scc1 .LBB33_13
; %bb.2:
	s_mov_b32 s9, 0
	v_lshl_add_u32 v2, s6, 5, v0
	s_lshl_b64 s[28:29], s[8:9], 3
	s_clause 0x1
	s_load_dwordx2 s[8:9], s[4:5], 0x48
	s_load_dwordx2 s[10:11], s[4:5], 0x68
	s_add_u32 s0, s14, s28
	s_addc_u32 s1, s15, s29
	s_load_dwordx2 s[0:1], s[0:1], 0x0
	s_load_dwordx4 s[24:27], s[4:5], 0x38
	s_lshl_b64 s[2:3], s[16:17], 2
	v_lshlrev_b32_e32 v4, 2, v1
	v_lshlrev_b32_e32 v7, 7, v0
	v_ashrrev_i32_e32 v3, 31, v2
	v_or_b32_e32 v8, 0x1000, v4
	v_add_nc_u32_e32 v9, v7, v4
	v_lshlrev_b64 v[3:4], 2, v[2:3]
	v_add_nc_u32_e32 v10, v8, v7
	v_add_nc_u32_e32 v11, 0x400, v8
	;; [unrolled: 1-line block ×4, first 2 shown]
	s_waitcnt lgkmcnt(0)
	s_add_u32 s14, s0, s2
	s_addc_u32 s15, s1, s3
	s_add_u32 s0, s24, s28
	s_addc_u32 s1, s25, s29
	s_load_dwordx2 s[16:17], s[0:1], 0x0
	s_load_dwordx4 s[0:3], s[4:5], 0x58
	s_lshl_b64 s[24:25], s[26:27], 2
	s_load_dword s4, s[4:5], 0x84
	s_waitcnt lgkmcnt(0)
	s_add_u32 s16, s16, s24
	s_addc_u32 s17, s17, s25
	s_add_u32 s0, s0, s28
	s_addc_u32 s1, s1, s29
	s_bitcmp1_b32 s20, 0
	s_load_dwordx2 s[24:25], s[0:1], 0x0
	s_cselect_b32 s1, -1, 0
	s_lshl_b64 s[2:3], s[2:3], 2
	v_cmp_gt_i32_e64 s0, s21, v2
	s_waitcnt lgkmcnt(0)
	s_add_u32 s2, s24, s2
	s_addc_u32 s3, s25, s3
	v_add_co_u32 v13, vcc_lo, s2, v3
	v_add_co_ci_u32_e64 v14, null, s3, v4, vcc_lo
	s_cmp_gt_i32 s21, 0
	s_cselect_b32 s3, -1, 0
	s_branch .LBB33_4
.LBB33_3:                               ;   in Loop: Header=BB33_4 Depth=1
	s_add_i32 s7, s7, s4
	s_cmp_gt_i32 s7, s13
	s_cbranch_scc1 .LBB33_13
.LBB33_4:                               ; =>This Loop Header: Depth=1
                                        ;     Child Loop BB33_7 Depth 2
	s_andn2_b32 vcc_lo, exec_lo, s3
	s_cbranch_vccnz .LBB33_3
; %bb.5:                                ;   in Loop: Header=BB33_4 Depth=1
	v_lshl_add_u32 v16, s7, 5, v1
	s_mov_b32 s6, 0
	v_ashrrev_i32_e32 v17, 31, v16
	v_mul_lo_u32 v18, s9, v16
	v_mad_u64_u32 v[3:4], null, s8, v16, 0
	v_mul_lo_u32 v20, s11, v16
	v_mul_lo_u32 v19, s8, v17
	v_mad_u64_u32 v[5:6], null, s10, v16, 0
	v_mul_lo_u32 v17, s10, v17
	v_cmp_gt_i32_e32 vcc_lo, s22, v16
	v_add3_u32 v4, v4, v19, v18
	s_and_b32 s5, s0, vcc_lo
	v_add3_u32 v6, v6, v17, v20
	v_lshlrev_b64 v[3:4], 2, v[3:4]
	v_lshlrev_b64 v[5:6], 2, v[5:6]
	v_add_co_u32 v16, s2, s16, v3
	v_add_co_ci_u32_e64 v17, null, s17, v4, s2
	v_add_co_u32 v3, s2, v13, v5
	v_add_co_ci_u32_e64 v4, null, v14, v6, s2
	s_branch .LBB33_7
.LBB33_6:                               ;   in Loop: Header=BB33_7 Depth=2
	s_or_b32 exec_lo, exec_lo, s2
	s_add_i32 s6, s6, 32
	s_waitcnt lgkmcnt(0)
	s_waitcnt_vscnt null, 0x0
	s_cmp_ge_i32 s6, s21
	s_barrier
	buffer_gl0_inv
	s_cbranch_scc1 .LBB33_3
.LBB33_7:                               ;   Parent Loop BB33_4 Depth=1
                                        ; =>  This Inner Loop Header: Depth=2
	v_add_nc_u32_e32 v6, s6, v1
	v_cndmask_b32_e64 v5, v6, v2, s1
	v_cndmask_b32_e64 v18, v2, v6, s1
	v_cmp_gt_i32_e64 s2, v5, v18
	v_mov_b32_e32 v18, 0
	v_cndmask_b32_e64 v5, v2, v6, s2
	v_cndmask_b32_e64 v6, v6, v2, s2
	v_max_i32_e32 v19, v5, v6
	v_cmp_gt_i32_e64 s2, s21, v19
	v_mov_b32_e32 v19, 0
	s_and_saveexec_b32 s20, s2
	s_cbranch_execz .LBB33_9
; %bb.8:                                ;   in Loop: Header=BB33_7 Depth=2
	v_ashrrev_i32_e32 v21, 31, v6
	v_mul_lo_u32 v22, s19, v6
	v_mad_u64_u32 v[19:20], null, s18, v6, 0
	v_mul_lo_u32 v6, s18, v21
	v_add3_u32 v20, v20, v6, v22
	v_ashrrev_i32_e32 v6, 31, v5
	v_lshlrev_b64 v[19:20], 2, v[19:20]
	v_lshlrev_b64 v[5:6], 2, v[5:6]
	v_add_co_u32 v19, s2, s14, v19
	v_add_co_ci_u32_e64 v20, null, s15, v20, s2
	v_add_co_u32 v5, s2, v19, v5
	v_add_co_ci_u32_e64 v6, null, v20, v6, s2
	flat_load_dword v19, v[5:6]
.LBB33_9:                               ;   in Loop: Header=BB33_7 Depth=2
	s_or_b32 exec_lo, exec_lo, s20
	v_add_nc_u32_e32 v5, s6, v0
	s_waitcnt vmcnt(0) lgkmcnt(0)
	ds_write_b32 v9, v19
	v_cmp_gt_i32_e64 s2, s21, v5
	s_and_b32 s2, s2, vcc_lo
	s_and_saveexec_b32 s20, s2
	s_cbranch_execz .LBB33_11
; %bb.10:                               ;   in Loop: Header=BB33_7 Depth=2
	v_ashrrev_i32_e32 v6, 31, v5
	v_lshlrev_b64 v[5:6], 2, v[5:6]
	v_add_co_u32 v5, s2, v16, v5
	v_add_co_ci_u32_e64 v6, null, v17, v6, s2
	flat_load_dword v18, v[5:6]
.LBB33_11:                              ;   in Loop: Header=BB33_7 Depth=2
	s_or_b32 exec_lo, exec_lo, s20
	s_waitcnt vmcnt(0) lgkmcnt(0)
	ds_write_b32 v10, v18
	s_waitcnt lgkmcnt(0)
	s_barrier
	buffer_gl0_inv
	s_and_saveexec_b32 s2, s5
	s_cbranch_execz .LBB33_6
; %bb.12:                               ;   in Loop: Header=BB33_7 Depth=2
	flat_load_dword v30, v[3:4]
	ds_read_b128 v[18:21], v7
	ds_read2_b32 v[5:6], v8 offset1:32
	ds_read2_b32 v[26:27], v8 offset0:64 offset1:96
	ds_read_b128 v[22:25], v7 offset:16
	ds_read2_b32 v[28:29], v8 offset0:128 offset1:160
	s_waitcnt lgkmcnt(3)
	v_fma_f32 v31, v18, v5, 0
	v_fmac_f32_e32 v31, v19, v6
	ds_read2_b32 v[5:6], v8 offset0:192 offset1:224
	s_waitcnt lgkmcnt(3)
	v_fmac_f32_e32 v31, v20, v26
	v_fmac_f32_e32 v31, v21, v27
	ds_read_b128 v[18:21], v7 offset:32
	ds_read2_b32 v[26:27], v11 offset1:32
	s_waitcnt lgkmcnt(3)
	v_fmac_f32_e32 v31, v22, v28
	v_fmac_f32_e32 v31, v23, v29
	ds_read2_b32 v[28:29], v11 offset0:64 offset1:96
	s_waitcnt lgkmcnt(3)
	v_fmac_f32_e32 v31, v24, v5
	v_fmac_f32_e32 v31, v25, v6
	ds_read_b128 v[22:25], v7 offset:48
	ds_read2_b32 v[5:6], v11 offset0:128 offset1:160
	s_waitcnt lgkmcnt(3)
	v_fmac_f32_e32 v31, v18, v26
	v_fmac_f32_e32 v31, v19, v27
	ds_read2_b32 v[26:27], v11 offset0:192 offset1:224
	s_waitcnt lgkmcnt(3)
	v_fmac_f32_e32 v31, v20, v28
	v_fmac_f32_e32 v31, v21, v29
	ds_read_b128 v[18:21], v7 offset:64
	ds_read2_b32 v[28:29], v12 offset1:32
	s_waitcnt lgkmcnt(3)
	v_fmac_f32_e32 v31, v22, v5
	v_fmac_f32_e32 v31, v23, v6
	ds_read2_b32 v[5:6], v12 offset0:64 offset1:96
	s_waitcnt lgkmcnt(3)
	v_fmac_f32_e32 v31, v24, v26
	v_fmac_f32_e32 v31, v25, v27
	ds_read_b128 v[22:25], v7 offset:80
	ds_read2_b32 v[26:27], v12 offset0:128 offset1:160
	s_waitcnt lgkmcnt(3)
	v_fmac_f32_e32 v31, v18, v28
	;; [unrolled: 18-line block ×3, first 2 shown]
	v_fmac_f32_e32 v31, v19, v6
	ds_read2_b32 v[5:6], v15 offset0:192 offset1:224
	s_waitcnt lgkmcnt(3)
	v_fmac_f32_e32 v31, v20, v26
	v_fmac_f32_e32 v31, v21, v27
	s_waitcnt lgkmcnt(1)
	v_fmac_f32_e32 v31, v22, v28
	v_fmac_f32_e32 v31, v23, v29
	;; [unrolled: 3-line block ×3, first 2 shown]
	s_waitcnt vmcnt(0)
	v_fmac_f32_e32 v30, s12, v31
	flat_store_dword v[3:4], v30
	s_branch .LBB33_6
.LBB33_13:
	s_endpgm
	.section	.rodata,"a",@progbits
	.p2align	6, 0x0
	.amdhsa_kernel _ZL24rocblas_symm_hemm_kernelILb0ELb0ELi32EPKfPKS1_PKPfEvbiiT2_T3_lllS8_lllT4_llli
		.amdhsa_group_segment_fixed_size 8192
		.amdhsa_private_segment_fixed_size 0
		.amdhsa_kernarg_size 384
		.amdhsa_user_sgpr_count 6
		.amdhsa_user_sgpr_private_segment_buffer 1
		.amdhsa_user_sgpr_dispatch_ptr 0
		.amdhsa_user_sgpr_queue_ptr 0
		.amdhsa_user_sgpr_kernarg_segment_ptr 1
		.amdhsa_user_sgpr_dispatch_id 0
		.amdhsa_user_sgpr_flat_scratch_init 0
		.amdhsa_user_sgpr_private_segment_size 0
		.amdhsa_wavefront_size32 1
		.amdhsa_uses_dynamic_stack 0
		.amdhsa_system_sgpr_private_segment_wavefront_offset 0
		.amdhsa_system_sgpr_workgroup_id_x 1
		.amdhsa_system_sgpr_workgroup_id_y 1
		.amdhsa_system_sgpr_workgroup_id_z 1
		.amdhsa_system_sgpr_workgroup_info 0
		.amdhsa_system_vgpr_workitem_id 1
		.amdhsa_next_free_vgpr 32
		.amdhsa_next_free_sgpr 30
		.amdhsa_reserve_vcc 1
		.amdhsa_reserve_flat_scratch 0
		.amdhsa_float_round_mode_32 0
		.amdhsa_float_round_mode_16_64 0
		.amdhsa_float_denorm_mode_32 3
		.amdhsa_float_denorm_mode_16_64 3
		.amdhsa_dx10_clamp 1
		.amdhsa_ieee_mode 1
		.amdhsa_fp16_overflow 0
		.amdhsa_workgroup_processor_mode 1
		.amdhsa_memory_ordered 1
		.amdhsa_forward_progress 1
		.amdhsa_shared_vgpr_count 0
		.amdhsa_exception_fp_ieee_invalid_op 0
		.amdhsa_exception_fp_denorm_src 0
		.amdhsa_exception_fp_ieee_div_zero 0
		.amdhsa_exception_fp_ieee_overflow 0
		.amdhsa_exception_fp_ieee_underflow 0
		.amdhsa_exception_fp_ieee_inexact 0
		.amdhsa_exception_int_div_zero 0
	.end_amdhsa_kernel
	.section	.text._ZL24rocblas_symm_hemm_kernelILb0ELb0ELi32EPKfPKS1_PKPfEvbiiT2_T3_lllS8_lllT4_llli,"axG",@progbits,_ZL24rocblas_symm_hemm_kernelILb0ELb0ELi32EPKfPKS1_PKPfEvbiiT2_T3_lllS8_lllT4_llli,comdat
.Lfunc_end33:
	.size	_ZL24rocblas_symm_hemm_kernelILb0ELb0ELi32EPKfPKS1_PKPfEvbiiT2_T3_lllS8_lllT4_llli, .Lfunc_end33-_ZL24rocblas_symm_hemm_kernelILb0ELb0ELi32EPKfPKS1_PKPfEvbiiT2_T3_lllS8_lllT4_llli
                                        ; -- End function
	.set _ZL24rocblas_symm_hemm_kernelILb0ELb0ELi32EPKfPKS1_PKPfEvbiiT2_T3_lllS8_lllT4_llli.num_vgpr, 32
	.set _ZL24rocblas_symm_hemm_kernelILb0ELb0ELi32EPKfPKS1_PKPfEvbiiT2_T3_lllS8_lllT4_llli.num_agpr, 0
	.set _ZL24rocblas_symm_hemm_kernelILb0ELb0ELi32EPKfPKS1_PKPfEvbiiT2_T3_lllS8_lllT4_llli.numbered_sgpr, 30
	.set _ZL24rocblas_symm_hemm_kernelILb0ELb0ELi32EPKfPKS1_PKPfEvbiiT2_T3_lllS8_lllT4_llli.num_named_barrier, 0
	.set _ZL24rocblas_symm_hemm_kernelILb0ELb0ELi32EPKfPKS1_PKPfEvbiiT2_T3_lllS8_lllT4_llli.private_seg_size, 0
	.set _ZL24rocblas_symm_hemm_kernelILb0ELb0ELi32EPKfPKS1_PKPfEvbiiT2_T3_lllS8_lllT4_llli.uses_vcc, 1
	.set _ZL24rocblas_symm_hemm_kernelILb0ELb0ELi32EPKfPKS1_PKPfEvbiiT2_T3_lllS8_lllT4_llli.uses_flat_scratch, 0
	.set _ZL24rocblas_symm_hemm_kernelILb0ELb0ELi32EPKfPKS1_PKPfEvbiiT2_T3_lllS8_lllT4_llli.has_dyn_sized_stack, 0
	.set _ZL24rocblas_symm_hemm_kernelILb0ELb0ELi32EPKfPKS1_PKPfEvbiiT2_T3_lllS8_lllT4_llli.has_recursion, 0
	.set _ZL24rocblas_symm_hemm_kernelILb0ELb0ELi32EPKfPKS1_PKPfEvbiiT2_T3_lllS8_lllT4_llli.has_indirect_call, 0
	.section	.AMDGPU.csdata,"",@progbits
; Kernel info:
; codeLenInByte = 1240
; TotalNumSgprs: 32
; NumVgprs: 32
; ScratchSize: 0
; MemoryBound: 0
; FloatMode: 240
; IeeeMode: 1
; LDSByteSize: 8192 bytes/workgroup (compile time only)
; SGPRBlocks: 0
; VGPRBlocks: 3
; NumSGPRsForWavesPerEU: 32
; NumVGPRsForWavesPerEU: 32
; Occupancy: 16
; WaveLimiterHint : 1
; COMPUTE_PGM_RSRC2:SCRATCH_EN: 0
; COMPUTE_PGM_RSRC2:USER_SGPR: 6
; COMPUTE_PGM_RSRC2:TRAP_HANDLER: 0
; COMPUTE_PGM_RSRC2:TGID_X_EN: 1
; COMPUTE_PGM_RSRC2:TGID_Y_EN: 1
; COMPUTE_PGM_RSRC2:TGID_Z_EN: 1
; COMPUTE_PGM_RSRC2:TIDIG_COMP_CNT: 1
	.section	.text._ZL24rocblas_symm_hemm_kernelILb0ELb1ELi32EPKfPKS1_PKPfEvbiiT2_T3_lllS8_lllT4_llli,"axG",@progbits,_ZL24rocblas_symm_hemm_kernelILb0ELb1ELi32EPKfPKS1_PKPfEvbiiT2_T3_lllS8_lllT4_llli,comdat
	.globl	_ZL24rocblas_symm_hemm_kernelILb0ELb1ELi32EPKfPKS1_PKPfEvbiiT2_T3_lllS8_lllT4_llli ; -- Begin function _ZL24rocblas_symm_hemm_kernelILb0ELb1ELi32EPKfPKS1_PKPfEvbiiT2_T3_lllS8_lllT4_llli
	.p2align	8
	.type	_ZL24rocblas_symm_hemm_kernelILb0ELb1ELi32EPKfPKS1_PKPfEvbiiT2_T3_lllS8_lllT4_llli,@function
_ZL24rocblas_symm_hemm_kernelILb0ELb1ELi32EPKfPKS1_PKPfEvbiiT2_T3_lllS8_lllT4_llli: ; @_ZL24rocblas_symm_hemm_kernelILb0ELb1ELi32EPKfPKS1_PKPfEvbiiT2_T3_lllS8_lllT4_llli
; %bb.0:
	s_load_dwordx8 s[12:19], s[4:5], 0x10
	s_waitcnt lgkmcnt(0)
	s_load_dword s24, s[12:13], 0x0
	s_waitcnt lgkmcnt(0)
	v_cmp_eq_f32_e64 s0, s24, 0
	s_and_b32 vcc_lo, exec_lo, s0
	s_cbranch_vccnz .LBB34_13
; %bb.1:
	s_load_dwordx4 s[20:23], s[4:5], 0x0
	s_waitcnt lgkmcnt(0)
	s_add_i32 s0, s22, -1
	s_ashr_i32 s1, s0, 31
	s_lshr_b32 s1, s1, 27
	s_add_i32 s0, s0, s1
	s_ashr_i32 s23, s0, 5
	s_cmp_gt_i32 s7, s23
	s_cbranch_scc1 .LBB34_13
; %bb.2:
	s_mov_b32 s9, 0
	v_lshl_add_u32 v2, s6, 5, v0
	s_lshl_b64 s[26:27], s[8:9], 3
	v_lshlrev_b32_e32 v4, 2, v1
	s_add_u32 s0, s14, s26
	s_addc_u32 s1, s15, s27
	s_lshl_b64 s[16:17], s[16:17], 2
	s_load_dwordx2 s[28:29], s[0:1], 0x0
	s_clause 0x3
	s_load_dwordx4 s[0:3], s[4:5], 0x38
	s_load_dwordx4 s[8:11], s[4:5], 0x58
	s_load_dwordx2 s[12:13], s[4:5], 0x48
	s_load_dwordx2 s[14:15], s[4:5], 0x68
	v_ashrrev_i32_e32 v3, 31, v2
	s_load_dword s4, s[4:5], 0x84
	v_lshlrev_b32_e32 v6, 7, v0
	v_or_b32_e32 v7, 0x1000, v4
	v_add_nc_u32_e32 v8, v6, v4
	v_add_nc_u32_e32 v9, v7, v6
	;; [unrolled: 1-line block ×5, first 2 shown]
	s_waitcnt lgkmcnt(0)
	s_add_u32 s16, s28, s16
	s_addc_u32 s17, s29, s17
	s_add_u32 s0, s0, s26
	s_addc_u32 s1, s1, s27
	;; [unrolled: 2-line block ×3, first 2 shown]
	s_load_dwordx2 s[26:27], s[0:1], 0x0
	s_load_dwordx2 s[8:9], s[8:9], 0x0
	s_bitcmp1_b32 s20, 0
	v_cmp_gt_i32_e64 s0, s21, v2
	v_lshlrev_b64 v[2:3], 2, v[2:3]
	s_cselect_b32 s1, -1, 0
	s_lshl_b64 s[10:11], s[10:11], 2
	s_waitcnt lgkmcnt(0)
	s_add_u32 s5, s8, s10
	s_addc_u32 s6, s9, s11
	s_lshl_b64 s[2:3], s[2:3], 2
	v_add_co_u32 v12, vcc_lo, s5, v2
	s_add_u32 s2, s26, s2
	v_add_co_ci_u32_e64 v13, null, s6, v3, vcc_lo
	s_addc_u32 s3, s27, s3
	v_add_co_u32 v14, vcc_lo, s2, v2
	v_add_co_ci_u32_e64 v15, null, s3, v3, vcc_lo
	s_cmp_gt_i32 s22, 0
	s_cselect_b32 s3, -1, 0
	s_branch .LBB34_4
.LBB34_3:                               ;   in Loop: Header=BB34_4 Depth=1
	s_add_i32 s7, s7, s4
	s_cmp_gt_i32 s7, s23
	s_cbranch_scc1 .LBB34_13
.LBB34_4:                               ; =>This Loop Header: Depth=1
                                        ;     Child Loop BB34_7 Depth 2
	s_andn2_b32 vcc_lo, exec_lo, s3
	s_cbranch_vccnz .LBB34_3
; %bb.5:                                ;   in Loop: Header=BB34_4 Depth=1
	v_lshl_add_u32 v17, s7, 5, v1
	s_mov_b32 s5, 0
	v_ashrrev_i32_e32 v4, 31, v17
	v_mul_lo_u32 v5, s15, v17
	v_mad_u64_u32 v[2:3], null, s14, v17, 0
	v_cmp_gt_i32_e32 vcc_lo, s22, v17
	v_mul_lo_u32 v4, s14, v4
	v_add3_u32 v3, v3, v4, v5
	v_lshlrev_b64 v[2:3], 2, v[2:3]
	v_add_co_u32 v2, s2, v12, v2
	v_add_co_ci_u32_e64 v3, null, v13, v3, s2
	s_and_b32 s2, s0, vcc_lo
	s_branch .LBB34_7
.LBB34_6:                               ;   in Loop: Header=BB34_7 Depth=2
	s_or_b32 exec_lo, exec_lo, s6
	s_add_i32 s5, s5, 32
	s_waitcnt lgkmcnt(0)
	s_waitcnt_vscnt null, 0x0
	s_cmp_ge_i32 s5, s22
	s_barrier
	buffer_gl0_inv
	s_cbranch_scc1 .LBB34_3
.LBB34_7:                               ;   Parent Loop BB34_4 Depth=1
                                        ; =>  This Inner Loop Header: Depth=2
	v_add_nc_u32_e32 v4, s5, v1
	v_mov_b32_e32 v5, 0
	v_mov_b32_e32 v18, 0
	v_cmp_gt_i32_e32 vcc_lo, s22, v4
	s_and_b32 s8, s0, vcc_lo
	s_and_saveexec_b32 s6, s8
	s_cbranch_execz .LBB34_9
; %bb.8:                                ;   in Loop: Header=BB34_7 Depth=2
	v_ashrrev_i32_e32 v20, 31, v4
	v_mul_lo_u32 v21, s13, v4
	v_mad_u64_u32 v[18:19], null, s12, v4, 0
	v_mul_lo_u32 v4, s12, v20
	v_add3_u32 v19, v19, v4, v21
	v_lshlrev_b64 v[18:19], 2, v[18:19]
	v_add_co_u32 v18, vcc_lo, v14, v18
	v_add_co_ci_u32_e64 v19, null, v15, v19, vcc_lo
	flat_load_dword v18, v[18:19]
.LBB34_9:                               ;   in Loop: Header=BB34_7 Depth=2
	s_or_b32 exec_lo, exec_lo, s6
	v_add_nc_u32_e32 v19, s5, v0
	s_mov_b32 s6, exec_lo
	s_waitcnt vmcnt(0) lgkmcnt(0)
	ds_write_b32 v8, v18
	v_cndmask_b32_e64 v4, v17, v19, s1
	v_cndmask_b32_e64 v20, v19, v17, s1
	v_cmp_gt_i32_e32 vcc_lo, v4, v20
	v_cndmask_b32_e32 v4, v19, v17, vcc_lo
	v_cndmask_b32_e32 v19, v17, v19, vcc_lo
	v_max_i32_e32 v20, v4, v19
	v_cmpx_gt_i32_e64 s22, v20
	s_cbranch_execz .LBB34_11
; %bb.10:                               ;   in Loop: Header=BB34_7 Depth=2
	v_ashrrev_i32_e32 v5, 31, v19
	v_mul_lo_u32 v20, s19, v19
	v_mad_u64_u32 v[18:19], null, s18, v19, 0
	v_mul_lo_u32 v5, s18, v5
	v_add3_u32 v19, v19, v5, v20
	v_ashrrev_i32_e32 v5, 31, v4
	v_lshlrev_b64 v[18:19], 2, v[18:19]
	v_lshlrev_b64 v[4:5], 2, v[4:5]
	v_add_co_u32 v18, vcc_lo, s16, v18
	v_add_co_ci_u32_e64 v19, null, s17, v19, vcc_lo
	v_add_co_u32 v4, vcc_lo, v18, v4
	v_add_co_ci_u32_e64 v5, null, v19, v5, vcc_lo
	flat_load_dword v5, v[4:5]
.LBB34_11:                              ;   in Loop: Header=BB34_7 Depth=2
	s_or_b32 exec_lo, exec_lo, s6
	s_waitcnt vmcnt(0) lgkmcnt(0)
	ds_write_b32 v9, v5
	s_waitcnt lgkmcnt(0)
	s_barrier
	buffer_gl0_inv
	s_and_saveexec_b32 s6, s2
	s_cbranch_execz .LBB34_6
; %bb.12:                               ;   in Loop: Header=BB34_7 Depth=2
	flat_load_dword v30, v[2:3]
	ds_read_b128 v[18:21], v6
	ds_read2_b32 v[4:5], v7 offset1:32
	ds_read2_b32 v[26:27], v7 offset0:64 offset1:96
	ds_read_b128 v[22:25], v6 offset:16
	ds_read2_b32 v[28:29], v7 offset0:128 offset1:160
	s_waitcnt lgkmcnt(3)
	v_fma_f32 v31, v18, v4, 0
	v_fmac_f32_e32 v31, v19, v5
	ds_read2_b32 v[4:5], v7 offset0:192 offset1:224
	s_waitcnt lgkmcnt(3)
	v_fmac_f32_e32 v31, v20, v26
	v_fmac_f32_e32 v31, v21, v27
	ds_read_b128 v[18:21], v6 offset:32
	ds_read2_b32 v[26:27], v10 offset1:32
	s_waitcnt lgkmcnt(3)
	v_fmac_f32_e32 v31, v22, v28
	v_fmac_f32_e32 v31, v23, v29
	ds_read2_b32 v[28:29], v10 offset0:64 offset1:96
	s_waitcnt lgkmcnt(3)
	v_fmac_f32_e32 v31, v24, v4
	v_fmac_f32_e32 v31, v25, v5
	ds_read_b128 v[22:25], v6 offset:48
	ds_read2_b32 v[4:5], v10 offset0:128 offset1:160
	s_waitcnt lgkmcnt(3)
	v_fmac_f32_e32 v31, v18, v26
	v_fmac_f32_e32 v31, v19, v27
	ds_read2_b32 v[26:27], v10 offset0:192 offset1:224
	s_waitcnt lgkmcnt(3)
	v_fmac_f32_e32 v31, v20, v28
	v_fmac_f32_e32 v31, v21, v29
	ds_read_b128 v[18:21], v6 offset:64
	ds_read2_b32 v[28:29], v11 offset1:32
	s_waitcnt lgkmcnt(3)
	v_fmac_f32_e32 v31, v22, v4
	v_fmac_f32_e32 v31, v23, v5
	ds_read2_b32 v[4:5], v11 offset0:64 offset1:96
	s_waitcnt lgkmcnt(3)
	v_fmac_f32_e32 v31, v24, v26
	v_fmac_f32_e32 v31, v25, v27
	ds_read_b128 v[22:25], v6 offset:80
	ds_read2_b32 v[26:27], v11 offset0:128 offset1:160
	s_waitcnt lgkmcnt(3)
	v_fmac_f32_e32 v31, v18, v28
	;; [unrolled: 18-line block ×3, first 2 shown]
	v_fmac_f32_e32 v31, v19, v5
	ds_read2_b32 v[4:5], v16 offset0:192 offset1:224
	s_waitcnt lgkmcnt(3)
	v_fmac_f32_e32 v31, v20, v26
	v_fmac_f32_e32 v31, v21, v27
	s_waitcnt lgkmcnt(1)
	v_fmac_f32_e32 v31, v22, v28
	v_fmac_f32_e32 v31, v23, v29
	;; [unrolled: 3-line block ×3, first 2 shown]
	s_waitcnt vmcnt(0)
	v_fmac_f32_e32 v30, s24, v31
	flat_store_dword v[2:3], v30
	s_branch .LBB34_6
.LBB34_13:
	s_endpgm
	.section	.rodata,"a",@progbits
	.p2align	6, 0x0
	.amdhsa_kernel _ZL24rocblas_symm_hemm_kernelILb0ELb1ELi32EPKfPKS1_PKPfEvbiiT2_T3_lllS8_lllT4_llli
		.amdhsa_group_segment_fixed_size 8192
		.amdhsa_private_segment_fixed_size 0
		.amdhsa_kernarg_size 384
		.amdhsa_user_sgpr_count 6
		.amdhsa_user_sgpr_private_segment_buffer 1
		.amdhsa_user_sgpr_dispatch_ptr 0
		.amdhsa_user_sgpr_queue_ptr 0
		.amdhsa_user_sgpr_kernarg_segment_ptr 1
		.amdhsa_user_sgpr_dispatch_id 0
		.amdhsa_user_sgpr_flat_scratch_init 0
		.amdhsa_user_sgpr_private_segment_size 0
		.amdhsa_wavefront_size32 1
		.amdhsa_uses_dynamic_stack 0
		.amdhsa_system_sgpr_private_segment_wavefront_offset 0
		.amdhsa_system_sgpr_workgroup_id_x 1
		.amdhsa_system_sgpr_workgroup_id_y 1
		.amdhsa_system_sgpr_workgroup_id_z 1
		.amdhsa_system_sgpr_workgroup_info 0
		.amdhsa_system_vgpr_workitem_id 1
		.amdhsa_next_free_vgpr 32
		.amdhsa_next_free_sgpr 30
		.amdhsa_reserve_vcc 1
		.amdhsa_reserve_flat_scratch 0
		.amdhsa_float_round_mode_32 0
		.amdhsa_float_round_mode_16_64 0
		.amdhsa_float_denorm_mode_32 3
		.amdhsa_float_denorm_mode_16_64 3
		.amdhsa_dx10_clamp 1
		.amdhsa_ieee_mode 1
		.amdhsa_fp16_overflow 0
		.amdhsa_workgroup_processor_mode 1
		.amdhsa_memory_ordered 1
		.amdhsa_forward_progress 1
		.amdhsa_shared_vgpr_count 0
		.amdhsa_exception_fp_ieee_invalid_op 0
		.amdhsa_exception_fp_denorm_src 0
		.amdhsa_exception_fp_ieee_div_zero 0
		.amdhsa_exception_fp_ieee_overflow 0
		.amdhsa_exception_fp_ieee_underflow 0
		.amdhsa_exception_fp_ieee_inexact 0
		.amdhsa_exception_int_div_zero 0
	.end_amdhsa_kernel
	.section	.text._ZL24rocblas_symm_hemm_kernelILb0ELb1ELi32EPKfPKS1_PKPfEvbiiT2_T3_lllS8_lllT4_llli,"axG",@progbits,_ZL24rocblas_symm_hemm_kernelILb0ELb1ELi32EPKfPKS1_PKPfEvbiiT2_T3_lllS8_lllT4_llli,comdat
.Lfunc_end34:
	.size	_ZL24rocblas_symm_hemm_kernelILb0ELb1ELi32EPKfPKS1_PKPfEvbiiT2_T3_lllS8_lllT4_llli, .Lfunc_end34-_ZL24rocblas_symm_hemm_kernelILb0ELb1ELi32EPKfPKS1_PKPfEvbiiT2_T3_lllS8_lllT4_llli
                                        ; -- End function
	.set _ZL24rocblas_symm_hemm_kernelILb0ELb1ELi32EPKfPKS1_PKPfEvbiiT2_T3_lllS8_lllT4_llli.num_vgpr, 32
	.set _ZL24rocblas_symm_hemm_kernelILb0ELb1ELi32EPKfPKS1_PKPfEvbiiT2_T3_lllS8_lllT4_llli.num_agpr, 0
	.set _ZL24rocblas_symm_hemm_kernelILb0ELb1ELi32EPKfPKS1_PKPfEvbiiT2_T3_lllS8_lllT4_llli.numbered_sgpr, 30
	.set _ZL24rocblas_symm_hemm_kernelILb0ELb1ELi32EPKfPKS1_PKPfEvbiiT2_T3_lllS8_lllT4_llli.num_named_barrier, 0
	.set _ZL24rocblas_symm_hemm_kernelILb0ELb1ELi32EPKfPKS1_PKPfEvbiiT2_T3_lllS8_lllT4_llli.private_seg_size, 0
	.set _ZL24rocblas_symm_hemm_kernelILb0ELb1ELi32EPKfPKS1_PKPfEvbiiT2_T3_lllS8_lllT4_llli.uses_vcc, 1
	.set _ZL24rocblas_symm_hemm_kernelILb0ELb1ELi32EPKfPKS1_PKPfEvbiiT2_T3_lllS8_lllT4_llli.uses_flat_scratch, 0
	.set _ZL24rocblas_symm_hemm_kernelILb0ELb1ELi32EPKfPKS1_PKPfEvbiiT2_T3_lllS8_lllT4_llli.has_dyn_sized_stack, 0
	.set _ZL24rocblas_symm_hemm_kernelILb0ELb1ELi32EPKfPKS1_PKPfEvbiiT2_T3_lllS8_lllT4_llli.has_recursion, 0
	.set _ZL24rocblas_symm_hemm_kernelILb0ELb1ELi32EPKfPKS1_PKPfEvbiiT2_T3_lllS8_lllT4_llli.has_indirect_call, 0
	.section	.AMDGPU.csdata,"",@progbits
; Kernel info:
; codeLenInByte = 1212
; TotalNumSgprs: 32
; NumVgprs: 32
; ScratchSize: 0
; MemoryBound: 0
; FloatMode: 240
; IeeeMode: 1
; LDSByteSize: 8192 bytes/workgroup (compile time only)
; SGPRBlocks: 0
; VGPRBlocks: 3
; NumSGPRsForWavesPerEU: 32
; NumVGPRsForWavesPerEU: 32
; Occupancy: 16
; WaveLimiterHint : 1
; COMPUTE_PGM_RSRC2:SCRATCH_EN: 0
; COMPUTE_PGM_RSRC2:USER_SGPR: 6
; COMPUTE_PGM_RSRC2:TRAP_HANDLER: 0
; COMPUTE_PGM_RSRC2:TGID_X_EN: 1
; COMPUTE_PGM_RSRC2:TGID_Y_EN: 1
; COMPUTE_PGM_RSRC2:TGID_Z_EN: 1
; COMPUTE_PGM_RSRC2:TIDIG_COMP_CNT: 1
	.section	.text._ZL25rocblas_symm_scale_kernelILi128ELi8EfPKPfEviiT1_T2_llli,"axG",@progbits,_ZL25rocblas_symm_scale_kernelILi128ELi8EfPKPfEviiT1_T2_llli,comdat
	.globl	_ZL25rocblas_symm_scale_kernelILi128ELi8EfPKPfEviiT1_T2_llli ; -- Begin function _ZL25rocblas_symm_scale_kernelILi128ELi8EfPKPfEviiT1_T2_llli
	.p2align	8
	.type	_ZL25rocblas_symm_scale_kernelILi128ELi8EfPKPfEviiT1_T2_llli,@function
_ZL25rocblas_symm_scale_kernelILi128ELi8EfPKPfEviiT1_T2_llli: ; @_ZL25rocblas_symm_scale_kernelILi128ELi8EfPKPfEviiT1_T2_llli
; %bb.0:
	s_load_dwordx4 s[0:3], s[4:5], 0x0
	s_waitcnt lgkmcnt(0)
	v_cmp_eq_f32_e64 s3, s2, 1.0
	s_and_b32 vcc_lo, exec_lo, s3
	s_cbranch_vccnz .LBB35_7
; %bb.1:
	v_lshl_add_u32 v1, s7, 3, v1
	v_mov_b32_e32 v2, 0
	v_lshl_add_u32 v3, s6, 7, v0
	s_ashr_i32 s7, s1, 31
	s_mov_b32 s6, s1
	v_cmp_gt_i64_e32 vcc_lo, s[6:7], v[1:2]
	v_cmp_gt_u32_e64 s0, s0, v3
	s_and_b32 s0, s0, vcc_lo
	s_and_saveexec_b32 s1, s0
	s_cbranch_execz .LBB35_7
; %bb.2:
	s_clause 0x1
	s_load_dwordx2 s[10:11], s[4:5], 0x20
	s_load_dwordx4 s[12:15], s[4:5], 0x10
	s_mov_b32 s9, 0
	s_load_dword s3, s[4:5], 0x3c
	s_lshl_b64 s[0:1], s[8:9], 3
	v_mov_b32_e32 v4, v2
	v_lshlrev_b64 v[3:4], 2, v[3:4]
	s_waitcnt lgkmcnt(0)
	v_mad_u64_u32 v[5:6], null, s10, v1, 0
	s_add_u32 s0, s12, s0
	s_addc_u32 s1, s13, s1
	s_lshl_b64 s[12:13], s[14:15], 2
	s_load_dwordx2 s[4:5], s[0:1], 0x0
	s_lshl_b32 s1, s3, 3
	s_mul_i32 s0, s11, s1
	v_mov_b32_e32 v0, v6
	s_mul_hi_u32 s3, s10, s1
	s_mul_i32 s10, s10, s1
	v_mad_u64_u32 v[6:7], null, s11, v1, v[0:1]
	s_add_i32 s11, s3, s0
	v_cmp_neq_f32_e64 s3, s2, 0
	v_lshlrev_b64 v[5:6], 2, v[5:6]
	v_add_co_u32 v0, vcc_lo, v5, s12
	v_add_co_ci_u32_e64 v5, null, s13, v6, vcc_lo
	v_add_co_u32 v0, vcc_lo, v0, v3
	v_add_co_ci_u32_e64 v4, null, v5, v4, vcc_lo
	s_waitcnt lgkmcnt(0)
	v_add_co_u32 v3, vcc_lo, s4, v0
	v_add_co_ci_u32_e64 v4, null, s5, v4, vcc_lo
	s_lshl_b64 s[4:5], s[10:11], 2
	s_branch .LBB35_5
	.p2align	6
.LBB35_3:                               ;   in Loop: Header=BB35_5 Depth=1
	flat_load_dword v0, v[3:4]
	s_waitcnt vmcnt(0) lgkmcnt(0)
	v_mul_f32_e32 v0, s2, v0
.LBB35_4:                               ;   in Loop: Header=BB35_5 Depth=1
	v_add_co_u32 v1, vcc_lo, v1, s1
	v_add_co_ci_u32_e64 v2, null, 0, v2, vcc_lo
	flat_store_dword v[3:4], v0
	v_add_co_u32 v3, s0, v3, s4
	v_cmp_le_i64_e32 vcc_lo, s[6:7], v[1:2]
	v_add_co_ci_u32_e64 v4, null, s5, v4, s0
	s_or_b32 s9, vcc_lo, s9
	s_andn2_b32 exec_lo, exec_lo, s9
	s_cbranch_execz .LBB35_7
.LBB35_5:                               ; =>This Inner Loop Header: Depth=1
	s_andn2_b32 vcc_lo, exec_lo, s3
	s_cbranch_vccz .LBB35_3
; %bb.6:                                ;   in Loop: Header=BB35_5 Depth=1
	v_mov_b32_e32 v0, 0
	s_branch .LBB35_4
.LBB35_7:
	s_endpgm
	.section	.rodata,"a",@progbits
	.p2align	6, 0x0
	.amdhsa_kernel _ZL25rocblas_symm_scale_kernelILi128ELi8EfPKPfEviiT1_T2_llli
		.amdhsa_group_segment_fixed_size 0
		.amdhsa_private_segment_fixed_size 0
		.amdhsa_kernarg_size 312
		.amdhsa_user_sgpr_count 6
		.amdhsa_user_sgpr_private_segment_buffer 1
		.amdhsa_user_sgpr_dispatch_ptr 0
		.amdhsa_user_sgpr_queue_ptr 0
		.amdhsa_user_sgpr_kernarg_segment_ptr 1
		.amdhsa_user_sgpr_dispatch_id 0
		.amdhsa_user_sgpr_flat_scratch_init 0
		.amdhsa_user_sgpr_private_segment_size 0
		.amdhsa_wavefront_size32 1
		.amdhsa_uses_dynamic_stack 0
		.amdhsa_system_sgpr_private_segment_wavefront_offset 0
		.amdhsa_system_sgpr_workgroup_id_x 1
		.amdhsa_system_sgpr_workgroup_id_y 1
		.amdhsa_system_sgpr_workgroup_id_z 1
		.amdhsa_system_sgpr_workgroup_info 0
		.amdhsa_system_vgpr_workitem_id 1
		.amdhsa_next_free_vgpr 8
		.amdhsa_next_free_sgpr 16
		.amdhsa_reserve_vcc 1
		.amdhsa_reserve_flat_scratch 0
		.amdhsa_float_round_mode_32 0
		.amdhsa_float_round_mode_16_64 0
		.amdhsa_float_denorm_mode_32 3
		.amdhsa_float_denorm_mode_16_64 3
		.amdhsa_dx10_clamp 1
		.amdhsa_ieee_mode 1
		.amdhsa_fp16_overflow 0
		.amdhsa_workgroup_processor_mode 1
		.amdhsa_memory_ordered 1
		.amdhsa_forward_progress 1
		.amdhsa_shared_vgpr_count 0
		.amdhsa_exception_fp_ieee_invalid_op 0
		.amdhsa_exception_fp_denorm_src 0
		.amdhsa_exception_fp_ieee_div_zero 0
		.amdhsa_exception_fp_ieee_overflow 0
		.amdhsa_exception_fp_ieee_underflow 0
		.amdhsa_exception_fp_ieee_inexact 0
		.amdhsa_exception_int_div_zero 0
	.end_amdhsa_kernel
	.section	.text._ZL25rocblas_symm_scale_kernelILi128ELi8EfPKPfEviiT1_T2_llli,"axG",@progbits,_ZL25rocblas_symm_scale_kernelILi128ELi8EfPKPfEviiT1_T2_llli,comdat
.Lfunc_end35:
	.size	_ZL25rocblas_symm_scale_kernelILi128ELi8EfPKPfEviiT1_T2_llli, .Lfunc_end35-_ZL25rocblas_symm_scale_kernelILi128ELi8EfPKPfEviiT1_T2_llli
                                        ; -- End function
	.set _ZL25rocblas_symm_scale_kernelILi128ELi8EfPKPfEviiT1_T2_llli.num_vgpr, 8
	.set _ZL25rocblas_symm_scale_kernelILi128ELi8EfPKPfEviiT1_T2_llli.num_agpr, 0
	.set _ZL25rocblas_symm_scale_kernelILi128ELi8EfPKPfEviiT1_T2_llli.numbered_sgpr, 16
	.set _ZL25rocblas_symm_scale_kernelILi128ELi8EfPKPfEviiT1_T2_llli.num_named_barrier, 0
	.set _ZL25rocblas_symm_scale_kernelILi128ELi8EfPKPfEviiT1_T2_llli.private_seg_size, 0
	.set _ZL25rocblas_symm_scale_kernelILi128ELi8EfPKPfEviiT1_T2_llli.uses_vcc, 1
	.set _ZL25rocblas_symm_scale_kernelILi128ELi8EfPKPfEviiT1_T2_llli.uses_flat_scratch, 0
	.set _ZL25rocblas_symm_scale_kernelILi128ELi8EfPKPfEviiT1_T2_llli.has_dyn_sized_stack, 0
	.set _ZL25rocblas_symm_scale_kernelILi128ELi8EfPKPfEviiT1_T2_llli.has_recursion, 0
	.set _ZL25rocblas_symm_scale_kernelILi128ELi8EfPKPfEviiT1_T2_llli.has_indirect_call, 0
	.section	.AMDGPU.csdata,"",@progbits
; Kernel info:
; codeLenInByte = 412
; TotalNumSgprs: 18
; NumVgprs: 8
; ScratchSize: 0
; MemoryBound: 0
; FloatMode: 240
; IeeeMode: 1
; LDSByteSize: 0 bytes/workgroup (compile time only)
; SGPRBlocks: 0
; VGPRBlocks: 0
; NumSGPRsForWavesPerEU: 18
; NumVGPRsForWavesPerEU: 8
; Occupancy: 16
; WaveLimiterHint : 0
; COMPUTE_PGM_RSRC2:SCRATCH_EN: 0
; COMPUTE_PGM_RSRC2:USER_SGPR: 6
; COMPUTE_PGM_RSRC2:TRAP_HANDLER: 0
; COMPUTE_PGM_RSRC2:TGID_X_EN: 1
; COMPUTE_PGM_RSRC2:TGID_Y_EN: 1
; COMPUTE_PGM_RSRC2:TGID_Z_EN: 1
; COMPUTE_PGM_RSRC2:TIDIG_COMP_CNT: 1
	.section	.text._ZL24rocblas_symm_hemm_kernelILb0ELb0ELi32EfPKPKfPKPfEvbiiT2_T3_lllS8_lllT4_llli,"axG",@progbits,_ZL24rocblas_symm_hemm_kernelILb0ELb0ELi32EfPKPKfPKPfEvbiiT2_T3_lllS8_lllT4_llli,comdat
	.globl	_ZL24rocblas_symm_hemm_kernelILb0ELb0ELi32EfPKPKfPKPfEvbiiT2_T3_lllS8_lllT4_llli ; -- Begin function _ZL24rocblas_symm_hemm_kernelILb0ELb0ELi32EfPKPKfPKPfEvbiiT2_T3_lllS8_lllT4_llli
	.p2align	8
	.type	_ZL24rocblas_symm_hemm_kernelILb0ELb0ELi32EfPKPKfPKPfEvbiiT2_T3_lllS8_lllT4_llli,@function
_ZL24rocblas_symm_hemm_kernelILb0ELb0ELi32EfPKPKfPKPfEvbiiT2_T3_lllS8_lllT4_llli: ; @_ZL24rocblas_symm_hemm_kernelILb0ELb0ELi32EfPKPKfPKPfEvbiiT2_T3_lllS8_lllT4_llli
; %bb.0:
	s_load_dwordx4 s[12:15], s[4:5], 0x0
	s_waitcnt lgkmcnt(0)
	v_cmp_eq_f32_e64 s0, s15, 0
	s_and_b32 vcc_lo, exec_lo, s0
	s_cbranch_vccnz .LBB36_13
; %bb.1:
	s_add_i32 s0, s14, -1
	s_ashr_i32 s1, s0, 31
	s_lshr_b32 s1, s1, 27
	s_add_i32 s0, s0, s1
	s_ashr_i32 s18, s0, 5
	s_cmp_gt_i32 s7, s18
	s_cbranch_scc1 .LBB36_13
; %bb.2:
	s_load_dwordx4 s[0:3], s[4:5], 0x10
	s_mov_b32 s9, 0
	v_lshl_add_u32 v2, s6, 5, v0
	s_lshl_b64 s[16:17], s[8:9], 3
	s_clause 0x1
	s_load_dwordx2 s[8:9], s[4:5], 0x20
	s_load_dwordx2 s[10:11], s[4:5], 0x40
	v_lshlrev_b32_e32 v4, 2, v1
	v_lshlrev_b32_e32 v7, 7, v0
	v_ashrrev_i32_e32 v3, 31, v2
	v_or_b32_e32 v8, 0x1000, v4
	v_add_nc_u32_e32 v9, v7, v4
	v_lshlrev_b64 v[3:4], 2, v[2:3]
	v_add_nc_u32_e32 v10, v8, v7
	v_add_nc_u32_e32 v11, 0x400, v8
	v_add_nc_u32_e32 v12, 0x800, v8
	v_add_nc_u32_e32 v15, 0xc00, v8
	s_waitcnt lgkmcnt(0)
	s_add_u32 s0, s0, s16
	s_addc_u32 s1, s1, s17
	s_lshl_b64 s[2:3], s[2:3], 2
	s_load_dwordx2 s[0:1], s[0:1], 0x0
	s_load_dwordx4 s[24:27], s[4:5], 0x30
	s_waitcnt lgkmcnt(0)
	s_add_u32 s19, s0, s2
	s_addc_u32 s20, s1, s3
	s_add_u32 s0, s24, s16
	s_addc_u32 s1, s25, s17
	s_lshl_b64 s[24:25], s[26:27], 2
	s_load_dwordx2 s[22:23], s[0:1], 0x0
	s_load_dwordx4 s[0:3], s[4:5], 0x50
	s_waitcnt lgkmcnt(0)
	s_add_u32 s21, s22, s24
	s_addc_u32 s22, s23, s25
	s_add_u32 s0, s0, s16
	s_addc_u32 s1, s1, s17
	s_load_dwordx2 s[16:17], s[4:5], 0x60
	s_load_dwordx2 s[24:25], s[0:1], 0x0
	s_load_dword s4, s[4:5], 0x7c
	s_bitcmp1_b32 s12, 0
	v_cmp_gt_i32_e64 s0, s13, v2
	s_cselect_b32 s1, -1, 0
	s_lshl_b64 s[2:3], s[2:3], 2
	s_waitcnt lgkmcnt(0)
	s_add_u32 s2, s24, s2
	s_addc_u32 s3, s25, s3
	v_add_co_u32 v13, vcc_lo, s2, v3
	v_add_co_ci_u32_e64 v14, null, s3, v4, vcc_lo
	s_cmp_gt_i32 s13, 0
	s_cselect_b32 s3, -1, 0
	s_branch .LBB36_4
.LBB36_3:                               ;   in Loop: Header=BB36_4 Depth=1
	s_add_i32 s7, s7, s4
	s_cmp_gt_i32 s7, s18
	s_cbranch_scc1 .LBB36_13
.LBB36_4:                               ; =>This Loop Header: Depth=1
                                        ;     Child Loop BB36_7 Depth 2
	s_andn2_b32 vcc_lo, exec_lo, s3
	s_cbranch_vccnz .LBB36_3
; %bb.5:                                ;   in Loop: Header=BB36_4 Depth=1
	v_lshl_add_u32 v16, s7, 5, v1
	s_mov_b32 s6, 0
	v_ashrrev_i32_e32 v17, 31, v16
	v_mul_lo_u32 v18, s11, v16
	v_mad_u64_u32 v[3:4], null, s10, v16, 0
	v_mul_lo_u32 v20, s17, v16
	v_mul_lo_u32 v19, s10, v17
	v_mad_u64_u32 v[5:6], null, s16, v16, 0
	v_mul_lo_u32 v17, s16, v17
	v_cmp_gt_i32_e32 vcc_lo, s14, v16
	v_add3_u32 v4, v4, v19, v18
	s_and_b32 s5, s0, vcc_lo
	v_add3_u32 v6, v6, v17, v20
	v_lshlrev_b64 v[3:4], 2, v[3:4]
	v_lshlrev_b64 v[5:6], 2, v[5:6]
	v_add_co_u32 v16, s2, s21, v3
	v_add_co_ci_u32_e64 v17, null, s22, v4, s2
	v_add_co_u32 v3, s2, v13, v5
	v_add_co_ci_u32_e64 v4, null, v14, v6, s2
	s_branch .LBB36_7
.LBB36_6:                               ;   in Loop: Header=BB36_7 Depth=2
	s_or_b32 exec_lo, exec_lo, s2
	s_add_i32 s6, s6, 32
	s_waitcnt lgkmcnt(0)
	s_waitcnt_vscnt null, 0x0
	s_cmp_ge_i32 s6, s13
	s_barrier
	buffer_gl0_inv
	s_cbranch_scc1 .LBB36_3
.LBB36_7:                               ;   Parent Loop BB36_4 Depth=1
                                        ; =>  This Inner Loop Header: Depth=2
	v_add_nc_u32_e32 v6, s6, v1
	v_cndmask_b32_e64 v5, v6, v2, s1
	v_cndmask_b32_e64 v18, v2, v6, s1
	v_cmp_gt_i32_e64 s2, v5, v18
	v_mov_b32_e32 v18, 0
	v_cndmask_b32_e64 v5, v2, v6, s2
	v_cndmask_b32_e64 v6, v6, v2, s2
	v_max_i32_e32 v19, v5, v6
	v_cmp_gt_i32_e64 s2, s13, v19
	v_mov_b32_e32 v19, 0
	s_and_saveexec_b32 s12, s2
	s_cbranch_execz .LBB36_9
; %bb.8:                                ;   in Loop: Header=BB36_7 Depth=2
	v_ashrrev_i32_e32 v21, 31, v6
	v_mul_lo_u32 v22, s9, v6
	v_mad_u64_u32 v[19:20], null, s8, v6, 0
	v_mul_lo_u32 v6, s8, v21
	v_add3_u32 v20, v20, v6, v22
	v_ashrrev_i32_e32 v6, 31, v5
	v_lshlrev_b64 v[19:20], 2, v[19:20]
	v_lshlrev_b64 v[5:6], 2, v[5:6]
	v_add_co_u32 v19, s2, s19, v19
	v_add_co_ci_u32_e64 v20, null, s20, v20, s2
	v_add_co_u32 v5, s2, v19, v5
	v_add_co_ci_u32_e64 v6, null, v20, v6, s2
	flat_load_dword v19, v[5:6]
.LBB36_9:                               ;   in Loop: Header=BB36_7 Depth=2
	s_or_b32 exec_lo, exec_lo, s12
	v_add_nc_u32_e32 v5, s6, v0
	s_waitcnt vmcnt(0) lgkmcnt(0)
	ds_write_b32 v9, v19
	v_cmp_gt_i32_e64 s2, s13, v5
	s_and_b32 s2, s2, vcc_lo
	s_and_saveexec_b32 s12, s2
	s_cbranch_execz .LBB36_11
; %bb.10:                               ;   in Loop: Header=BB36_7 Depth=2
	v_ashrrev_i32_e32 v6, 31, v5
	v_lshlrev_b64 v[5:6], 2, v[5:6]
	v_add_co_u32 v5, s2, v16, v5
	v_add_co_ci_u32_e64 v6, null, v17, v6, s2
	flat_load_dword v18, v[5:6]
.LBB36_11:                              ;   in Loop: Header=BB36_7 Depth=2
	s_or_b32 exec_lo, exec_lo, s12
	s_waitcnt vmcnt(0) lgkmcnt(0)
	ds_write_b32 v10, v18
	s_waitcnt lgkmcnt(0)
	s_barrier
	buffer_gl0_inv
	s_and_saveexec_b32 s2, s5
	s_cbranch_execz .LBB36_6
; %bb.12:                               ;   in Loop: Header=BB36_7 Depth=2
	flat_load_dword v30, v[3:4]
	ds_read_b128 v[18:21], v7
	ds_read2_b32 v[5:6], v8 offset1:32
	ds_read2_b32 v[26:27], v8 offset0:64 offset1:96
	ds_read_b128 v[22:25], v7 offset:16
	ds_read2_b32 v[28:29], v8 offset0:128 offset1:160
	s_waitcnt lgkmcnt(3)
	v_fma_f32 v31, v18, v5, 0
	v_fmac_f32_e32 v31, v19, v6
	ds_read2_b32 v[5:6], v8 offset0:192 offset1:224
	s_waitcnt lgkmcnt(3)
	v_fmac_f32_e32 v31, v20, v26
	v_fmac_f32_e32 v31, v21, v27
	ds_read_b128 v[18:21], v7 offset:32
	ds_read2_b32 v[26:27], v11 offset1:32
	s_waitcnt lgkmcnt(3)
	v_fmac_f32_e32 v31, v22, v28
	v_fmac_f32_e32 v31, v23, v29
	ds_read2_b32 v[28:29], v11 offset0:64 offset1:96
	s_waitcnt lgkmcnt(3)
	v_fmac_f32_e32 v31, v24, v5
	v_fmac_f32_e32 v31, v25, v6
	ds_read_b128 v[22:25], v7 offset:48
	ds_read2_b32 v[5:6], v11 offset0:128 offset1:160
	s_waitcnt lgkmcnt(3)
	v_fmac_f32_e32 v31, v18, v26
	v_fmac_f32_e32 v31, v19, v27
	ds_read2_b32 v[26:27], v11 offset0:192 offset1:224
	s_waitcnt lgkmcnt(3)
	v_fmac_f32_e32 v31, v20, v28
	v_fmac_f32_e32 v31, v21, v29
	ds_read_b128 v[18:21], v7 offset:64
	ds_read2_b32 v[28:29], v12 offset1:32
	s_waitcnt lgkmcnt(3)
	v_fmac_f32_e32 v31, v22, v5
	v_fmac_f32_e32 v31, v23, v6
	ds_read2_b32 v[5:6], v12 offset0:64 offset1:96
	s_waitcnt lgkmcnt(3)
	v_fmac_f32_e32 v31, v24, v26
	v_fmac_f32_e32 v31, v25, v27
	ds_read_b128 v[22:25], v7 offset:80
	ds_read2_b32 v[26:27], v12 offset0:128 offset1:160
	s_waitcnt lgkmcnt(3)
	v_fmac_f32_e32 v31, v18, v28
	;; [unrolled: 18-line block ×3, first 2 shown]
	v_fmac_f32_e32 v31, v19, v6
	ds_read2_b32 v[5:6], v15 offset0:192 offset1:224
	s_waitcnt lgkmcnt(3)
	v_fmac_f32_e32 v31, v20, v26
	v_fmac_f32_e32 v31, v21, v27
	s_waitcnt lgkmcnt(1)
	v_fmac_f32_e32 v31, v22, v28
	v_fmac_f32_e32 v31, v23, v29
	;; [unrolled: 3-line block ×3, first 2 shown]
	s_waitcnt vmcnt(0)
	v_fmac_f32_e32 v30, s15, v31
	flat_store_dword v[3:4], v30
	s_branch .LBB36_6
.LBB36_13:
	s_endpgm
	.section	.rodata,"a",@progbits
	.p2align	6, 0x0
	.amdhsa_kernel _ZL24rocblas_symm_hemm_kernelILb0ELb0ELi32EfPKPKfPKPfEvbiiT2_T3_lllS8_lllT4_llli
		.amdhsa_group_segment_fixed_size 8192
		.amdhsa_private_segment_fixed_size 0
		.amdhsa_kernarg_size 376
		.amdhsa_user_sgpr_count 6
		.amdhsa_user_sgpr_private_segment_buffer 1
		.amdhsa_user_sgpr_dispatch_ptr 0
		.amdhsa_user_sgpr_queue_ptr 0
		.amdhsa_user_sgpr_kernarg_segment_ptr 1
		.amdhsa_user_sgpr_dispatch_id 0
		.amdhsa_user_sgpr_flat_scratch_init 0
		.amdhsa_user_sgpr_private_segment_size 0
		.amdhsa_wavefront_size32 1
		.amdhsa_uses_dynamic_stack 0
		.amdhsa_system_sgpr_private_segment_wavefront_offset 0
		.amdhsa_system_sgpr_workgroup_id_x 1
		.amdhsa_system_sgpr_workgroup_id_y 1
		.amdhsa_system_sgpr_workgroup_id_z 1
		.amdhsa_system_sgpr_workgroup_info 0
		.amdhsa_system_vgpr_workitem_id 1
		.amdhsa_next_free_vgpr 32
		.amdhsa_next_free_sgpr 28
		.amdhsa_reserve_vcc 1
		.amdhsa_reserve_flat_scratch 0
		.amdhsa_float_round_mode_32 0
		.amdhsa_float_round_mode_16_64 0
		.amdhsa_float_denorm_mode_32 3
		.amdhsa_float_denorm_mode_16_64 3
		.amdhsa_dx10_clamp 1
		.amdhsa_ieee_mode 1
		.amdhsa_fp16_overflow 0
		.amdhsa_workgroup_processor_mode 1
		.amdhsa_memory_ordered 1
		.amdhsa_forward_progress 1
		.amdhsa_shared_vgpr_count 0
		.amdhsa_exception_fp_ieee_invalid_op 0
		.amdhsa_exception_fp_denorm_src 0
		.amdhsa_exception_fp_ieee_div_zero 0
		.amdhsa_exception_fp_ieee_overflow 0
		.amdhsa_exception_fp_ieee_underflow 0
		.amdhsa_exception_fp_ieee_inexact 0
		.amdhsa_exception_int_div_zero 0
	.end_amdhsa_kernel
	.section	.text._ZL24rocblas_symm_hemm_kernelILb0ELb0ELi32EfPKPKfPKPfEvbiiT2_T3_lllS8_lllT4_llli,"axG",@progbits,_ZL24rocblas_symm_hemm_kernelILb0ELb0ELi32EfPKPKfPKPfEvbiiT2_T3_lllS8_lllT4_llli,comdat
.Lfunc_end36:
	.size	_ZL24rocblas_symm_hemm_kernelILb0ELb0ELi32EfPKPKfPKPfEvbiiT2_T3_lllS8_lllT4_llli, .Lfunc_end36-_ZL24rocblas_symm_hemm_kernelILb0ELb0ELi32EfPKPKfPKPfEvbiiT2_T3_lllS8_lllT4_llli
                                        ; -- End function
	.set _ZL24rocblas_symm_hemm_kernelILb0ELb0ELi32EfPKPKfPKPfEvbiiT2_T3_lllS8_lllT4_llli.num_vgpr, 32
	.set _ZL24rocblas_symm_hemm_kernelILb0ELb0ELi32EfPKPKfPKPfEvbiiT2_T3_lllS8_lllT4_llli.num_agpr, 0
	.set _ZL24rocblas_symm_hemm_kernelILb0ELb0ELi32EfPKPKfPKPfEvbiiT2_T3_lllS8_lllT4_llli.numbered_sgpr, 28
	.set _ZL24rocblas_symm_hemm_kernelILb0ELb0ELi32EfPKPKfPKPfEvbiiT2_T3_lllS8_lllT4_llli.num_named_barrier, 0
	.set _ZL24rocblas_symm_hemm_kernelILb0ELb0ELi32EfPKPKfPKPfEvbiiT2_T3_lllS8_lllT4_llli.private_seg_size, 0
	.set _ZL24rocblas_symm_hemm_kernelILb0ELb0ELi32EfPKPKfPKPfEvbiiT2_T3_lllS8_lllT4_llli.uses_vcc, 1
	.set _ZL24rocblas_symm_hemm_kernelILb0ELb0ELi32EfPKPKfPKPfEvbiiT2_T3_lllS8_lllT4_llli.uses_flat_scratch, 0
	.set _ZL24rocblas_symm_hemm_kernelILb0ELb0ELi32EfPKPKfPKPfEvbiiT2_T3_lllS8_lllT4_llli.has_dyn_sized_stack, 0
	.set _ZL24rocblas_symm_hemm_kernelILb0ELb0ELi32EfPKPKfPKPfEvbiiT2_T3_lllS8_lllT4_llli.has_recursion, 0
	.set _ZL24rocblas_symm_hemm_kernelILb0ELb0ELi32EfPKPKfPKPfEvbiiT2_T3_lllS8_lllT4_llli.has_indirect_call, 0
	.section	.AMDGPU.csdata,"",@progbits
; Kernel info:
; codeLenInByte = 1236
; TotalNumSgprs: 30
; NumVgprs: 32
; ScratchSize: 0
; MemoryBound: 0
; FloatMode: 240
; IeeeMode: 1
; LDSByteSize: 8192 bytes/workgroup (compile time only)
; SGPRBlocks: 0
; VGPRBlocks: 3
; NumSGPRsForWavesPerEU: 30
; NumVGPRsForWavesPerEU: 32
; Occupancy: 16
; WaveLimiterHint : 1
; COMPUTE_PGM_RSRC2:SCRATCH_EN: 0
; COMPUTE_PGM_RSRC2:USER_SGPR: 6
; COMPUTE_PGM_RSRC2:TRAP_HANDLER: 0
; COMPUTE_PGM_RSRC2:TGID_X_EN: 1
; COMPUTE_PGM_RSRC2:TGID_Y_EN: 1
; COMPUTE_PGM_RSRC2:TGID_Z_EN: 1
; COMPUTE_PGM_RSRC2:TIDIG_COMP_CNT: 1
	.section	.text._ZL24rocblas_symm_hemm_kernelILb0ELb1ELi32EfPKPKfPKPfEvbiiT2_T3_lllS8_lllT4_llli,"axG",@progbits,_ZL24rocblas_symm_hemm_kernelILb0ELb1ELi32EfPKPKfPKPfEvbiiT2_T3_lllS8_lllT4_llli,comdat
	.globl	_ZL24rocblas_symm_hemm_kernelILb0ELb1ELi32EfPKPKfPKPfEvbiiT2_T3_lllS8_lllT4_llli ; -- Begin function _ZL24rocblas_symm_hemm_kernelILb0ELb1ELi32EfPKPKfPKPfEvbiiT2_T3_lllS8_lllT4_llli
	.p2align	8
	.type	_ZL24rocblas_symm_hemm_kernelILb0ELb1ELi32EfPKPKfPKPfEvbiiT2_T3_lllS8_lllT4_llli,@function
_ZL24rocblas_symm_hemm_kernelILb0ELb1ELi32EfPKPKfPKPfEvbiiT2_T3_lllS8_lllT4_llli: ; @_ZL24rocblas_symm_hemm_kernelILb0ELb1ELi32EfPKPKfPKPfEvbiiT2_T3_lllS8_lllT4_llli
; %bb.0:
	s_load_dwordx4 s[12:15], s[4:5], 0x0
	s_waitcnt lgkmcnt(0)
	v_cmp_eq_f32_e64 s0, s15, 0
	s_and_b32 vcc_lo, exec_lo, s0
	s_cbranch_vccnz .LBB37_13
; %bb.1:
	s_add_i32 s0, s14, -1
	s_ashr_i32 s1, s0, 31
	s_lshr_b32 s1, s1, 27
	s_add_i32 s0, s0, s1
	s_ashr_i32 s20, s0, 5
	s_cmp_gt_i32 s7, s20
	s_cbranch_scc1 .LBB37_13
; %bb.2:
	s_clause 0x1
	s_load_dwordx4 s[24:27], s[4:5], 0x10
	s_load_dwordx2 s[16:17], s[4:5], 0x20
	s_mov_b32 s9, 0
	v_lshl_add_u32 v2, s6, 5, v0
	s_lshl_b64 s[28:29], s[8:9], 3
	s_load_dwordx2 s[18:19], s[4:5], 0x40
	v_lshlrev_b32_e32 v4, 2, v1
	v_lshlrev_b32_e32 v6, 7, v0
	v_ashrrev_i32_e32 v3, 31, v2
	v_or_b32_e32 v7, 0x1000, v4
	v_add_nc_u32_e32 v8, v6, v4
	v_add_nc_u32_e32 v9, v7, v6
	;; [unrolled: 1-line block ×5, first 2 shown]
	s_waitcnt lgkmcnt(0)
	s_add_u32 s0, s24, s28
	s_addc_u32 s1, s25, s29
	s_lshl_b64 s[24:25], s[26:27], 2
	s_load_dwordx2 s[22:23], s[0:1], 0x0
	s_clause 0x1
	s_load_dwordx4 s[0:3], s[4:5], 0x30
	s_load_dwordx4 s[8:11], s[4:5], 0x50
	s_waitcnt lgkmcnt(0)
	s_add_u32 s21, s22, s24
	s_addc_u32 s22, s23, s25
	s_add_u32 s0, s0, s28
	s_addc_u32 s1, s1, s29
	;; [unrolled: 2-line block ×3, first 2 shown]
	s_load_dwordx2 s[26:27], s[0:1], 0x0
	s_load_dwordx2 s[24:25], s[8:9], 0x0
	s_clause 0x1
	s_load_dwordx2 s[8:9], s[4:5], 0x60
	s_load_dword s4, s[4:5], 0x7c
	s_bitcmp1_b32 s12, 0
	v_cmp_gt_i32_e64 s0, s13, v2
	v_lshlrev_b64 v[2:3], 2, v[2:3]
	s_cselect_b32 s1, -1, 0
	s_lshl_b64 s[10:11], s[10:11], 2
	s_waitcnt lgkmcnt(0)
	s_add_u32 s5, s24, s10
	s_addc_u32 s6, s25, s11
	s_lshl_b64 s[2:3], s[2:3], 2
	v_add_co_u32 v12, vcc_lo, s5, v2
	s_add_u32 s2, s26, s2
	v_add_co_ci_u32_e64 v13, null, s6, v3, vcc_lo
	s_addc_u32 s3, s27, s3
	v_add_co_u32 v14, vcc_lo, s2, v2
	v_add_co_ci_u32_e64 v15, null, s3, v3, vcc_lo
	s_cmp_gt_i32 s14, 0
	s_cselect_b32 s3, -1, 0
	s_branch .LBB37_4
.LBB37_3:                               ;   in Loop: Header=BB37_4 Depth=1
	s_add_i32 s7, s7, s4
	s_cmp_gt_i32 s7, s20
	s_cbranch_scc1 .LBB37_13
.LBB37_4:                               ; =>This Loop Header: Depth=1
                                        ;     Child Loop BB37_7 Depth 2
	s_andn2_b32 vcc_lo, exec_lo, s3
	s_cbranch_vccnz .LBB37_3
; %bb.5:                                ;   in Loop: Header=BB37_4 Depth=1
	v_lshl_add_u32 v17, s7, 5, v1
	s_mov_b32 s5, 0
	v_ashrrev_i32_e32 v4, 31, v17
	v_mul_lo_u32 v5, s9, v17
	v_mad_u64_u32 v[2:3], null, s8, v17, 0
	v_cmp_gt_i32_e32 vcc_lo, s14, v17
	v_mul_lo_u32 v4, s8, v4
	v_add3_u32 v3, v3, v4, v5
	v_lshlrev_b64 v[2:3], 2, v[2:3]
	v_add_co_u32 v2, s2, v12, v2
	v_add_co_ci_u32_e64 v3, null, v13, v3, s2
	s_and_b32 s2, s0, vcc_lo
	s_branch .LBB37_7
.LBB37_6:                               ;   in Loop: Header=BB37_7 Depth=2
	s_or_b32 exec_lo, exec_lo, s6
	s_add_i32 s5, s5, 32
	s_waitcnt lgkmcnt(0)
	s_waitcnt_vscnt null, 0x0
	s_cmp_ge_i32 s5, s14
	s_barrier
	buffer_gl0_inv
	s_cbranch_scc1 .LBB37_3
.LBB37_7:                               ;   Parent Loop BB37_4 Depth=1
                                        ; =>  This Inner Loop Header: Depth=2
	v_add_nc_u32_e32 v4, s5, v1
	v_mov_b32_e32 v5, 0
	v_mov_b32_e32 v18, 0
	v_cmp_gt_i32_e32 vcc_lo, s14, v4
	s_and_b32 s10, s0, vcc_lo
	s_and_saveexec_b32 s6, s10
	s_cbranch_execz .LBB37_9
; %bb.8:                                ;   in Loop: Header=BB37_7 Depth=2
	v_ashrrev_i32_e32 v20, 31, v4
	v_mul_lo_u32 v21, s19, v4
	v_mad_u64_u32 v[18:19], null, s18, v4, 0
	v_mul_lo_u32 v4, s18, v20
	v_add3_u32 v19, v19, v4, v21
	v_lshlrev_b64 v[18:19], 2, v[18:19]
	v_add_co_u32 v18, vcc_lo, v14, v18
	v_add_co_ci_u32_e64 v19, null, v15, v19, vcc_lo
	flat_load_dword v18, v[18:19]
.LBB37_9:                               ;   in Loop: Header=BB37_7 Depth=2
	s_or_b32 exec_lo, exec_lo, s6
	v_add_nc_u32_e32 v19, s5, v0
	s_mov_b32 s6, exec_lo
	s_waitcnt vmcnt(0) lgkmcnt(0)
	ds_write_b32 v8, v18
	v_cndmask_b32_e64 v4, v17, v19, s1
	v_cndmask_b32_e64 v20, v19, v17, s1
	v_cmp_gt_i32_e32 vcc_lo, v4, v20
	v_cndmask_b32_e32 v4, v19, v17, vcc_lo
	v_cndmask_b32_e32 v19, v17, v19, vcc_lo
	v_max_i32_e32 v20, v4, v19
	v_cmpx_gt_i32_e64 s14, v20
	s_cbranch_execz .LBB37_11
; %bb.10:                               ;   in Loop: Header=BB37_7 Depth=2
	v_ashrrev_i32_e32 v5, 31, v19
	v_mul_lo_u32 v20, s17, v19
	v_mad_u64_u32 v[18:19], null, s16, v19, 0
	v_mul_lo_u32 v5, s16, v5
	v_add3_u32 v19, v19, v5, v20
	v_ashrrev_i32_e32 v5, 31, v4
	v_lshlrev_b64 v[18:19], 2, v[18:19]
	v_lshlrev_b64 v[4:5], 2, v[4:5]
	v_add_co_u32 v18, vcc_lo, s21, v18
	v_add_co_ci_u32_e64 v19, null, s22, v19, vcc_lo
	v_add_co_u32 v4, vcc_lo, v18, v4
	v_add_co_ci_u32_e64 v5, null, v19, v5, vcc_lo
	flat_load_dword v5, v[4:5]
.LBB37_11:                              ;   in Loop: Header=BB37_7 Depth=2
	s_or_b32 exec_lo, exec_lo, s6
	s_waitcnt vmcnt(0) lgkmcnt(0)
	ds_write_b32 v9, v5
	s_waitcnt lgkmcnt(0)
	s_barrier
	buffer_gl0_inv
	s_and_saveexec_b32 s6, s2
	s_cbranch_execz .LBB37_6
; %bb.12:                               ;   in Loop: Header=BB37_7 Depth=2
	flat_load_dword v30, v[2:3]
	ds_read_b128 v[18:21], v6
	ds_read2_b32 v[4:5], v7 offset1:32
	ds_read2_b32 v[26:27], v7 offset0:64 offset1:96
	ds_read_b128 v[22:25], v6 offset:16
	ds_read2_b32 v[28:29], v7 offset0:128 offset1:160
	s_waitcnt lgkmcnt(3)
	v_fma_f32 v31, v18, v4, 0
	v_fmac_f32_e32 v31, v19, v5
	ds_read2_b32 v[4:5], v7 offset0:192 offset1:224
	s_waitcnt lgkmcnt(3)
	v_fmac_f32_e32 v31, v20, v26
	v_fmac_f32_e32 v31, v21, v27
	ds_read_b128 v[18:21], v6 offset:32
	ds_read2_b32 v[26:27], v10 offset1:32
	s_waitcnt lgkmcnt(3)
	v_fmac_f32_e32 v31, v22, v28
	v_fmac_f32_e32 v31, v23, v29
	ds_read2_b32 v[28:29], v10 offset0:64 offset1:96
	s_waitcnt lgkmcnt(3)
	v_fmac_f32_e32 v31, v24, v4
	v_fmac_f32_e32 v31, v25, v5
	ds_read_b128 v[22:25], v6 offset:48
	ds_read2_b32 v[4:5], v10 offset0:128 offset1:160
	s_waitcnt lgkmcnt(3)
	v_fmac_f32_e32 v31, v18, v26
	v_fmac_f32_e32 v31, v19, v27
	ds_read2_b32 v[26:27], v10 offset0:192 offset1:224
	s_waitcnt lgkmcnt(3)
	v_fmac_f32_e32 v31, v20, v28
	v_fmac_f32_e32 v31, v21, v29
	ds_read_b128 v[18:21], v6 offset:64
	ds_read2_b32 v[28:29], v11 offset1:32
	s_waitcnt lgkmcnt(3)
	v_fmac_f32_e32 v31, v22, v4
	v_fmac_f32_e32 v31, v23, v5
	ds_read2_b32 v[4:5], v11 offset0:64 offset1:96
	s_waitcnt lgkmcnt(3)
	v_fmac_f32_e32 v31, v24, v26
	v_fmac_f32_e32 v31, v25, v27
	ds_read_b128 v[22:25], v6 offset:80
	ds_read2_b32 v[26:27], v11 offset0:128 offset1:160
	s_waitcnt lgkmcnt(3)
	v_fmac_f32_e32 v31, v18, v28
	;; [unrolled: 18-line block ×3, first 2 shown]
	v_fmac_f32_e32 v31, v19, v5
	ds_read2_b32 v[4:5], v16 offset0:192 offset1:224
	s_waitcnt lgkmcnt(3)
	v_fmac_f32_e32 v31, v20, v26
	v_fmac_f32_e32 v31, v21, v27
	s_waitcnt lgkmcnt(1)
	v_fmac_f32_e32 v31, v22, v28
	v_fmac_f32_e32 v31, v23, v29
	;; [unrolled: 3-line block ×3, first 2 shown]
	s_waitcnt vmcnt(0)
	v_fmac_f32_e32 v30, s15, v31
	flat_store_dword v[2:3], v30
	s_branch .LBB37_6
.LBB37_13:
	s_endpgm
	.section	.rodata,"a",@progbits
	.p2align	6, 0x0
	.amdhsa_kernel _ZL24rocblas_symm_hemm_kernelILb0ELb1ELi32EfPKPKfPKPfEvbiiT2_T3_lllS8_lllT4_llli
		.amdhsa_group_segment_fixed_size 8192
		.amdhsa_private_segment_fixed_size 0
		.amdhsa_kernarg_size 376
		.amdhsa_user_sgpr_count 6
		.amdhsa_user_sgpr_private_segment_buffer 1
		.amdhsa_user_sgpr_dispatch_ptr 0
		.amdhsa_user_sgpr_queue_ptr 0
		.amdhsa_user_sgpr_kernarg_segment_ptr 1
		.amdhsa_user_sgpr_dispatch_id 0
		.amdhsa_user_sgpr_flat_scratch_init 0
		.amdhsa_user_sgpr_private_segment_size 0
		.amdhsa_wavefront_size32 1
		.amdhsa_uses_dynamic_stack 0
		.amdhsa_system_sgpr_private_segment_wavefront_offset 0
		.amdhsa_system_sgpr_workgroup_id_x 1
		.amdhsa_system_sgpr_workgroup_id_y 1
		.amdhsa_system_sgpr_workgroup_id_z 1
		.amdhsa_system_sgpr_workgroup_info 0
		.amdhsa_system_vgpr_workitem_id 1
		.amdhsa_next_free_vgpr 32
		.amdhsa_next_free_sgpr 30
		.amdhsa_reserve_vcc 1
		.amdhsa_reserve_flat_scratch 0
		.amdhsa_float_round_mode_32 0
		.amdhsa_float_round_mode_16_64 0
		.amdhsa_float_denorm_mode_32 3
		.amdhsa_float_denorm_mode_16_64 3
		.amdhsa_dx10_clamp 1
		.amdhsa_ieee_mode 1
		.amdhsa_fp16_overflow 0
		.amdhsa_workgroup_processor_mode 1
		.amdhsa_memory_ordered 1
		.amdhsa_forward_progress 1
		.amdhsa_shared_vgpr_count 0
		.amdhsa_exception_fp_ieee_invalid_op 0
		.amdhsa_exception_fp_denorm_src 0
		.amdhsa_exception_fp_ieee_div_zero 0
		.amdhsa_exception_fp_ieee_overflow 0
		.amdhsa_exception_fp_ieee_underflow 0
		.amdhsa_exception_fp_ieee_inexact 0
		.amdhsa_exception_int_div_zero 0
	.end_amdhsa_kernel
	.section	.text._ZL24rocblas_symm_hemm_kernelILb0ELb1ELi32EfPKPKfPKPfEvbiiT2_T3_lllS8_lllT4_llli,"axG",@progbits,_ZL24rocblas_symm_hemm_kernelILb0ELb1ELi32EfPKPKfPKPfEvbiiT2_T3_lllS8_lllT4_llli,comdat
.Lfunc_end37:
	.size	_ZL24rocblas_symm_hemm_kernelILb0ELb1ELi32EfPKPKfPKPfEvbiiT2_T3_lllS8_lllT4_llli, .Lfunc_end37-_ZL24rocblas_symm_hemm_kernelILb0ELb1ELi32EfPKPKfPKPfEvbiiT2_T3_lllS8_lllT4_llli
                                        ; -- End function
	.set _ZL24rocblas_symm_hemm_kernelILb0ELb1ELi32EfPKPKfPKPfEvbiiT2_T3_lllS8_lllT4_llli.num_vgpr, 32
	.set _ZL24rocblas_symm_hemm_kernelILb0ELb1ELi32EfPKPKfPKPfEvbiiT2_T3_lllS8_lllT4_llli.num_agpr, 0
	.set _ZL24rocblas_symm_hemm_kernelILb0ELb1ELi32EfPKPKfPKPfEvbiiT2_T3_lllS8_lllT4_llli.numbered_sgpr, 30
	.set _ZL24rocblas_symm_hemm_kernelILb0ELb1ELi32EfPKPKfPKPfEvbiiT2_T3_lllS8_lllT4_llli.num_named_barrier, 0
	.set _ZL24rocblas_symm_hemm_kernelILb0ELb1ELi32EfPKPKfPKPfEvbiiT2_T3_lllS8_lllT4_llli.private_seg_size, 0
	.set _ZL24rocblas_symm_hemm_kernelILb0ELb1ELi32EfPKPKfPKPfEvbiiT2_T3_lllS8_lllT4_llli.uses_vcc, 1
	.set _ZL24rocblas_symm_hemm_kernelILb0ELb1ELi32EfPKPKfPKPfEvbiiT2_T3_lllS8_lllT4_llli.uses_flat_scratch, 0
	.set _ZL24rocblas_symm_hemm_kernelILb0ELb1ELi32EfPKPKfPKPfEvbiiT2_T3_lllS8_lllT4_llli.has_dyn_sized_stack, 0
	.set _ZL24rocblas_symm_hemm_kernelILb0ELb1ELi32EfPKPKfPKPfEvbiiT2_T3_lllS8_lllT4_llli.has_recursion, 0
	.set _ZL24rocblas_symm_hemm_kernelILb0ELb1ELi32EfPKPKfPKPfEvbiiT2_T3_lllS8_lllT4_llli.has_indirect_call, 0
	.section	.AMDGPU.csdata,"",@progbits
; Kernel info:
; codeLenInByte = 1216
; TotalNumSgprs: 32
; NumVgprs: 32
; ScratchSize: 0
; MemoryBound: 0
; FloatMode: 240
; IeeeMode: 1
; LDSByteSize: 8192 bytes/workgroup (compile time only)
; SGPRBlocks: 0
; VGPRBlocks: 3
; NumSGPRsForWavesPerEU: 32
; NumVGPRsForWavesPerEU: 32
; Occupancy: 16
; WaveLimiterHint : 1
; COMPUTE_PGM_RSRC2:SCRATCH_EN: 0
; COMPUTE_PGM_RSRC2:USER_SGPR: 6
; COMPUTE_PGM_RSRC2:TRAP_HANDLER: 0
; COMPUTE_PGM_RSRC2:TGID_X_EN: 1
; COMPUTE_PGM_RSRC2:TGID_Y_EN: 1
; COMPUTE_PGM_RSRC2:TGID_Z_EN: 1
; COMPUTE_PGM_RSRC2:TIDIG_COMP_CNT: 1
	.section	.text._ZL25rocblas_symm_scale_kernelILi128ELi8EPKdPKPdEviiT1_T2_llli,"axG",@progbits,_ZL25rocblas_symm_scale_kernelILi128ELi8EPKdPKPdEviiT1_T2_llli,comdat
	.globl	_ZL25rocblas_symm_scale_kernelILi128ELi8EPKdPKPdEviiT1_T2_llli ; -- Begin function _ZL25rocblas_symm_scale_kernelILi128ELi8EPKdPKPdEviiT1_T2_llli
	.p2align	8
	.type	_ZL25rocblas_symm_scale_kernelILi128ELi8EPKdPKPdEviiT1_T2_llli,@function
_ZL25rocblas_symm_scale_kernelILi128ELi8EPKdPKPdEviiT1_T2_llli: ; @_ZL25rocblas_symm_scale_kernelILi128ELi8EPKdPKPdEviiT1_T2_llli
; %bb.0:
	s_load_dwordx8 s[12:19], s[4:5], 0x8
	s_waitcnt lgkmcnt(0)
	s_load_dwordx2 s[2:3], s[12:13], 0x0
	s_waitcnt lgkmcnt(0)
	v_cmp_eq_f64_e64 s0, s[2:3], 1.0
	s_and_b32 vcc_lo, exec_lo, s0
	s_cbranch_vccnz .LBB38_7
; %bb.1:
	s_load_dwordx2 s[0:1], s[4:5], 0x0
	v_lshl_add_u32 v1, s7, 3, v1
	v_mov_b32_e32 v2, 0
	v_lshl_add_u32 v3, s6, 7, v0
	s_waitcnt lgkmcnt(0)
	s_ashr_i32 s7, s1, 31
	s_mov_b32 s6, s1
	v_cmp_gt_u32_e64 s0, s0, v3
	v_cmp_gt_i64_e32 vcc_lo, s[6:7], v[1:2]
	s_and_b32 s0, s0, vcc_lo
	s_and_saveexec_b32 s1, s0
	s_cbranch_execz .LBB38_7
; %bb.2:
	v_mad_u64_u32 v[5:6], null, s18, v1, 0
	s_load_dword s12, s[4:5], 0x3c
	s_mov_b32 s9, 0
	v_mov_b32_e32 v4, v2
	s_lshl_b64 s[0:1], s[8:9], 3
	s_add_u32 s0, s14, s0
	v_mov_b32_e32 v0, v6
	s_addc_u32 s1, s15, s1
	s_lshl_b64 s[10:11], s[16:17], 3
	s_load_dwordx2 s[4:5], s[0:1], 0x0
	v_lshlrev_b64 v[3:4], 3, v[3:4]
	v_mad_u64_u32 v[6:7], null, s19, v1, v[0:1]
	v_lshlrev_b64 v[5:6], 3, v[5:6]
	s_waitcnt lgkmcnt(0)
	s_lshl_b32 s1, s12, 3
	s_mul_i32 s0, s19, s1
	s_mul_hi_u32 s8, s18, s1
	v_add_co_u32 v0, vcc_lo, v5, s10
	v_add_co_ci_u32_e64 v5, null, s11, v6, vcc_lo
	s_add_i32 s11, s8, s0
	v_cmp_neq_f64_e64 s8, s[2:3], 0
	v_add_co_u32 v0, vcc_lo, v0, v3
	v_add_co_ci_u32_e64 v4, null, v5, v4, vcc_lo
	s_mul_i32 s10, s18, s1
	v_add_co_u32 v3, vcc_lo, s4, v0
	v_add_co_ci_u32_e64 v4, null, s5, v4, vcc_lo
	s_lshl_b64 s[4:5], s[10:11], 3
	s_branch .LBB38_5
	.p2align	6
.LBB38_3:                               ;   in Loop: Header=BB38_5 Depth=1
	flat_load_dwordx2 v[5:6], v[3:4]
	s_waitcnt vmcnt(0) lgkmcnt(0)
	v_mul_f64 v[5:6], s[2:3], v[5:6]
.LBB38_4:                               ;   in Loop: Header=BB38_5 Depth=1
	v_add_co_u32 v1, vcc_lo, v1, s1
	v_add_co_ci_u32_e64 v2, null, 0, v2, vcc_lo
	flat_store_dwordx2 v[3:4], v[5:6]
	v_add_co_u32 v3, s0, v3, s4
	v_cmp_le_i64_e32 vcc_lo, s[6:7], v[1:2]
	v_add_co_ci_u32_e64 v4, null, s5, v4, s0
	s_or_b32 s9, vcc_lo, s9
	s_andn2_b32 exec_lo, exec_lo, s9
	s_cbranch_execz .LBB38_7
.LBB38_5:                               ; =>This Inner Loop Header: Depth=1
	s_andn2_b32 vcc_lo, exec_lo, s8
	s_cbranch_vccz .LBB38_3
; %bb.6:                                ;   in Loop: Header=BB38_5 Depth=1
	v_mov_b32_e32 v5, 0
	v_mov_b32_e32 v6, 0
	s_branch .LBB38_4
.LBB38_7:
	s_endpgm
	.section	.rodata,"a",@progbits
	.p2align	6, 0x0
	.amdhsa_kernel _ZL25rocblas_symm_scale_kernelILi128ELi8EPKdPKPdEviiT1_T2_llli
		.amdhsa_group_segment_fixed_size 0
		.amdhsa_private_segment_fixed_size 0
		.amdhsa_kernarg_size 312
		.amdhsa_user_sgpr_count 6
		.amdhsa_user_sgpr_private_segment_buffer 1
		.amdhsa_user_sgpr_dispatch_ptr 0
		.amdhsa_user_sgpr_queue_ptr 0
		.amdhsa_user_sgpr_kernarg_segment_ptr 1
		.amdhsa_user_sgpr_dispatch_id 0
		.amdhsa_user_sgpr_flat_scratch_init 0
		.amdhsa_user_sgpr_private_segment_size 0
		.amdhsa_wavefront_size32 1
		.amdhsa_uses_dynamic_stack 0
		.amdhsa_system_sgpr_private_segment_wavefront_offset 0
		.amdhsa_system_sgpr_workgroup_id_x 1
		.amdhsa_system_sgpr_workgroup_id_y 1
		.amdhsa_system_sgpr_workgroup_id_z 1
		.amdhsa_system_sgpr_workgroup_info 0
		.amdhsa_system_vgpr_workitem_id 1
		.amdhsa_next_free_vgpr 8
		.amdhsa_next_free_sgpr 20
		.amdhsa_reserve_vcc 1
		.amdhsa_reserve_flat_scratch 0
		.amdhsa_float_round_mode_32 0
		.amdhsa_float_round_mode_16_64 0
		.amdhsa_float_denorm_mode_32 3
		.amdhsa_float_denorm_mode_16_64 3
		.amdhsa_dx10_clamp 1
		.amdhsa_ieee_mode 1
		.amdhsa_fp16_overflow 0
		.amdhsa_workgroup_processor_mode 1
		.amdhsa_memory_ordered 1
		.amdhsa_forward_progress 1
		.amdhsa_shared_vgpr_count 0
		.amdhsa_exception_fp_ieee_invalid_op 0
		.amdhsa_exception_fp_denorm_src 0
		.amdhsa_exception_fp_ieee_div_zero 0
		.amdhsa_exception_fp_ieee_overflow 0
		.amdhsa_exception_fp_ieee_underflow 0
		.amdhsa_exception_fp_ieee_inexact 0
		.amdhsa_exception_int_div_zero 0
	.end_amdhsa_kernel
	.section	.text._ZL25rocblas_symm_scale_kernelILi128ELi8EPKdPKPdEviiT1_T2_llli,"axG",@progbits,_ZL25rocblas_symm_scale_kernelILi128ELi8EPKdPKPdEviiT1_T2_llli,comdat
.Lfunc_end38:
	.size	_ZL25rocblas_symm_scale_kernelILi128ELi8EPKdPKPdEviiT1_T2_llli, .Lfunc_end38-_ZL25rocblas_symm_scale_kernelILi128ELi8EPKdPKPdEviiT1_T2_llli
                                        ; -- End function
	.set _ZL25rocblas_symm_scale_kernelILi128ELi8EPKdPKPdEviiT1_T2_llli.num_vgpr, 8
	.set _ZL25rocblas_symm_scale_kernelILi128ELi8EPKdPKPdEviiT1_T2_llli.num_agpr, 0
	.set _ZL25rocblas_symm_scale_kernelILi128ELi8EPKdPKPdEviiT1_T2_llli.numbered_sgpr, 20
	.set _ZL25rocblas_symm_scale_kernelILi128ELi8EPKdPKPdEviiT1_T2_llli.num_named_barrier, 0
	.set _ZL25rocblas_symm_scale_kernelILi128ELi8EPKdPKPdEviiT1_T2_llli.private_seg_size, 0
	.set _ZL25rocblas_symm_scale_kernelILi128ELi8EPKdPKPdEviiT1_T2_llli.uses_vcc, 1
	.set _ZL25rocblas_symm_scale_kernelILi128ELi8EPKdPKPdEviiT1_T2_llli.uses_flat_scratch, 0
	.set _ZL25rocblas_symm_scale_kernelILi128ELi8EPKdPKPdEviiT1_T2_llli.has_dyn_sized_stack, 0
	.set _ZL25rocblas_symm_scale_kernelILi128ELi8EPKdPKPdEviiT1_T2_llli.has_recursion, 0
	.set _ZL25rocblas_symm_scale_kernelILi128ELi8EPKdPKPdEviiT1_T2_llli.has_indirect_call, 0
	.section	.AMDGPU.csdata,"",@progbits
; Kernel info:
; codeLenInByte = 420
; TotalNumSgprs: 22
; NumVgprs: 8
; ScratchSize: 0
; MemoryBound: 1
; FloatMode: 240
; IeeeMode: 1
; LDSByteSize: 0 bytes/workgroup (compile time only)
; SGPRBlocks: 0
; VGPRBlocks: 0
; NumSGPRsForWavesPerEU: 22
; NumVGPRsForWavesPerEU: 8
; Occupancy: 16
; WaveLimiterHint : 0
; COMPUTE_PGM_RSRC2:SCRATCH_EN: 0
; COMPUTE_PGM_RSRC2:USER_SGPR: 6
; COMPUTE_PGM_RSRC2:TRAP_HANDLER: 0
; COMPUTE_PGM_RSRC2:TGID_X_EN: 1
; COMPUTE_PGM_RSRC2:TGID_Y_EN: 1
; COMPUTE_PGM_RSRC2:TGID_Z_EN: 1
; COMPUTE_PGM_RSRC2:TIDIG_COMP_CNT: 1
	.section	.text._ZL24rocblas_symm_hemm_kernelILb0ELb0ELi32EPKdPKS1_PKPdEvbiiT2_T3_lllS8_lllT4_llli,"axG",@progbits,_ZL24rocblas_symm_hemm_kernelILb0ELb0ELi32EPKdPKS1_PKPdEvbiiT2_T3_lllS8_lllT4_llli,comdat
	.globl	_ZL24rocblas_symm_hemm_kernelILb0ELb0ELi32EPKdPKS1_PKPdEvbiiT2_T3_lllS8_lllT4_llli ; -- Begin function _ZL24rocblas_symm_hemm_kernelILb0ELb0ELi32EPKdPKS1_PKPdEvbiiT2_T3_lllS8_lllT4_llli
	.p2align	8
	.type	_ZL24rocblas_symm_hemm_kernelILb0ELb0ELi32EPKdPKS1_PKPdEvbiiT2_T3_lllS8_lllT4_llli,@function
_ZL24rocblas_symm_hemm_kernelILb0ELb0ELi32EPKdPKS1_PKPdEvbiiT2_T3_lllS8_lllT4_llli: ; @_ZL24rocblas_symm_hemm_kernelILb0ELb0ELi32EPKdPKS1_PKPdEvbiiT2_T3_lllS8_lllT4_llli
; %bb.0:
	s_load_dwordx8 s[12:19], s[4:5], 0x10
	s_waitcnt lgkmcnt(0)
	s_load_dwordx2 s[10:11], s[12:13], 0x0
	s_waitcnt lgkmcnt(0)
	v_cmp_eq_f64_e64 s0, s[10:11], 0
	s_and_b32 vcc_lo, exec_lo, s0
	s_cbranch_vccnz .LBB39_13
; %bb.1:
	s_load_dwordx4 s[20:23], s[4:5], 0x0
	s_waitcnt lgkmcnt(0)
	s_add_i32 s0, s22, -1
	s_ashr_i32 s1, s0, 31
	s_lshr_b32 s1, s1, 27
	s_add_i32 s0, s0, s1
	s_ashr_i32 s23, s0, 5
	s_cmp_gt_i32 s7, s23
	s_cbranch_scc1 .LBB39_13
; %bb.2:
	s_mov_b32 s9, 0
	v_lshl_add_u32 v2, s6, 5, v0
	s_lshl_b64 s[28:29], s[8:9], 3
	s_clause 0x1
	s_load_dwordx2 s[8:9], s[4:5], 0x48
	s_load_dwordx2 s[12:13], s[4:5], 0x68
	s_add_u32 s0, s14, s28
	s_addc_u32 s1, s15, s29
	s_load_dwordx2 s[0:1], s[0:1], 0x0
	s_load_dwordx4 s[24:27], s[4:5], 0x38
	s_lshl_b64 s[2:3], s[16:17], 3
	v_lshlrev_b32_e32 v4, 3, v1
	v_lshlrev_b32_e32 v10, 8, v0
	v_ashrrev_i32_e32 v3, 31, v2
	v_or_b32_e32 v11, 0x2000, v4
	v_add_nc_u32_e32 v12, v10, v4
	v_lshlrev_b64 v[3:4], 3, v[2:3]
	v_add_nc_u32_e32 v13, v11, v10
	v_add_nc_u32_e32 v14, 0x800, v11
	;; [unrolled: 1-line block ×4, first 2 shown]
	s_waitcnt lgkmcnt(0)
	s_add_u32 s14, s0, s2
	s_addc_u32 s15, s1, s3
	s_add_u32 s0, s24, s28
	s_addc_u32 s1, s25, s29
	s_load_dwordx2 s[16:17], s[0:1], 0x0
	s_load_dwordx4 s[0:3], s[4:5], 0x58
	s_lshl_b64 s[24:25], s[26:27], 3
	s_load_dword s4, s[4:5], 0x84
	s_waitcnt lgkmcnt(0)
	s_add_u32 s16, s16, s24
	s_addc_u32 s17, s17, s25
	s_add_u32 s0, s0, s28
	s_addc_u32 s1, s1, s29
	s_bitcmp1_b32 s20, 0
	s_load_dwordx2 s[24:25], s[0:1], 0x0
	s_cselect_b32 s1, -1, 0
	s_lshl_b64 s[2:3], s[2:3], 3
	v_cmp_gt_i32_e64 s0, s21, v2
	s_waitcnt lgkmcnt(0)
	s_add_u32 s2, s24, s2
	s_addc_u32 s3, s25, s3
	v_add_co_u32 v16, vcc_lo, s2, v3
	v_add_co_ci_u32_e64 v17, null, s3, v4, vcc_lo
	s_cmp_gt_i32 s21, 0
	s_cselect_b32 s3, -1, 0
	s_branch .LBB39_4
.LBB39_3:                               ;   in Loop: Header=BB39_4 Depth=1
	s_add_i32 s7, s7, s4
	s_cmp_gt_i32 s7, s23
	s_cbranch_scc1 .LBB39_13
.LBB39_4:                               ; =>This Loop Header: Depth=1
                                        ;     Child Loop BB39_7 Depth 2
	s_andn2_b32 vcc_lo, exec_lo, s3
	s_cbranch_vccnz .LBB39_3
; %bb.5:                                ;   in Loop: Header=BB39_4 Depth=1
	v_lshl_add_u32 v7, s7, 5, v1
	s_mov_b32 s6, 0
	v_ashrrev_i32_e32 v8, 31, v7
	v_mul_lo_u32 v9, s9, v7
	v_mad_u64_u32 v[3:4], null, s8, v7, 0
	v_mul_lo_u32 v20, s13, v7
	v_mul_lo_u32 v19, s8, v8
	v_mad_u64_u32 v[5:6], null, s12, v7, 0
	v_mul_lo_u32 v8, s12, v8
	v_cmp_gt_i32_e32 vcc_lo, s22, v7
	v_add3_u32 v4, v4, v19, v9
	s_and_b32 s5, s0, vcc_lo
	v_add3_u32 v6, v6, v8, v20
	v_lshlrev_b64 v[3:4], 3, v[3:4]
	v_lshlrev_b64 v[5:6], 3, v[5:6]
	v_add_co_u32 v19, s2, s16, v3
	v_add_co_ci_u32_e64 v20, null, s17, v4, s2
	v_add_co_u32 v3, s2, v16, v5
	v_add_co_ci_u32_e64 v4, null, v17, v6, s2
	s_branch .LBB39_7
.LBB39_6:                               ;   in Loop: Header=BB39_7 Depth=2
	s_or_b32 exec_lo, exec_lo, s2
	s_add_i32 s6, s6, 32
	s_waitcnt lgkmcnt(0)
	s_waitcnt_vscnt null, 0x0
	s_cmp_ge_i32 s6, s21
	s_barrier
	buffer_gl0_inv
	s_cbranch_scc1 .LBB39_3
.LBB39_7:                               ;   Parent Loop BB39_4 Depth=1
                                        ; =>  This Inner Loop Header: Depth=2
	v_add_nc_u32_e32 v5, s6, v1
	v_mov_b32_e32 v8, 0
	v_mov_b32_e32 v9, 0
	s_mov_b32 s20, exec_lo
	v_cndmask_b32_e64 v6, v5, v2, s1
	v_cndmask_b32_e64 v7, v2, v5, s1
	v_cmp_gt_i32_e64 s2, v6, v7
	v_cndmask_b32_e64 v7, v2, v5, s2
	v_cndmask_b32_e64 v21, v5, v2, s2
	v_mov_b32_e32 v5, 0
	v_mov_b32_e32 v6, 0
	v_max_i32_e32 v22, v7, v21
	v_cmpx_gt_i32_e64 s21, v22
	s_cbranch_execz .LBB39_9
; %bb.8:                                ;   in Loop: Header=BB39_7 Depth=2
	v_ashrrev_i32_e32 v8, 31, v21
	v_mul_lo_u32 v9, s19, v21
	v_mad_u64_u32 v[21:22], null, s18, v21, 0
	v_mul_lo_u32 v8, s18, v8
	v_add3_u32 v22, v22, v8, v9
	v_ashrrev_i32_e32 v8, 31, v7
	v_lshlrev_b64 v[21:22], 3, v[21:22]
	v_lshlrev_b64 v[7:8], 3, v[7:8]
	v_add_co_u32 v9, s2, s14, v21
	v_add_co_ci_u32_e64 v21, null, s15, v22, s2
	v_add_co_u32 v7, s2, v9, v7
	v_add_co_ci_u32_e64 v8, null, v21, v8, s2
	flat_load_dwordx2 v[8:9], v[7:8]
.LBB39_9:                               ;   in Loop: Header=BB39_7 Depth=2
	s_or_b32 exec_lo, exec_lo, s20
	v_add_nc_u32_e32 v7, s6, v0
	s_waitcnt vmcnt(0) lgkmcnt(0)
	ds_write_b64 v12, v[8:9]
	v_cmp_gt_i32_e64 s2, s21, v7
	s_and_b32 s2, s2, vcc_lo
	s_and_saveexec_b32 s20, s2
	s_cbranch_execz .LBB39_11
; %bb.10:                               ;   in Loop: Header=BB39_7 Depth=2
	v_ashrrev_i32_e32 v8, 31, v7
	v_lshlrev_b64 v[5:6], 3, v[7:8]
	v_add_co_u32 v5, s2, v19, v5
	v_add_co_ci_u32_e64 v6, null, v20, v6, s2
	flat_load_dwordx2 v[5:6], v[5:6]
.LBB39_11:                              ;   in Loop: Header=BB39_7 Depth=2
	s_or_b32 exec_lo, exec_lo, s20
	s_waitcnt vmcnt(0) lgkmcnt(0)
	ds_write_b64 v13, v[5:6]
	s_waitcnt lgkmcnt(0)
	s_barrier
	buffer_gl0_inv
	s_and_saveexec_b32 s2, s5
	s_cbranch_execz .LBB39_6
; %bb.12:                               ;   in Loop: Header=BB39_7 Depth=2
	ds_read2_b64 v[5:8], v11 offset1:32
	ds_read_b128 v[21:24], v10
	ds_read_b128 v[25:28], v10 offset:16
	s_waitcnt lgkmcnt(1)
	v_fma_f64 v[5:6], v[21:22], v[5:6], 0
	v_fma_f64 v[21:22], v[23:24], v[7:8], v[5:6]
	ds_read2_b64 v[5:8], v11 offset0:64 offset1:96
	s_waitcnt lgkmcnt(0)
	v_fma_f64 v[5:6], v[25:26], v[5:6], v[21:22]
	v_fma_f64 v[29:30], v[27:28], v[7:8], v[5:6]
	ds_read2_b64 v[5:8], v11 offset0:128 offset1:160
	ds_read_b128 v[21:24], v10 offset:32
	ds_read_b128 v[25:28], v10 offset:48
	s_waitcnt lgkmcnt(1)
	v_fma_f64 v[5:6], v[21:22], v[5:6], v[29:30]
	v_fma_f64 v[21:22], v[23:24], v[7:8], v[5:6]
	ds_read2_b64 v[5:8], v11 offset0:192 offset1:224
	s_waitcnt lgkmcnt(0)
	v_fma_f64 v[5:6], v[25:26], v[5:6], v[21:22]
	v_fma_f64 v[29:30], v[27:28], v[7:8], v[5:6]
	ds_read2_b64 v[5:8], v14 offset1:32
	ds_read_b128 v[21:24], v10 offset:64
	ds_read_b128 v[25:28], v10 offset:80
	s_waitcnt lgkmcnt(1)
	v_fma_f64 v[5:6], v[21:22], v[5:6], v[29:30]
	v_fma_f64 v[21:22], v[23:24], v[7:8], v[5:6]
	ds_read2_b64 v[5:8], v14 offset0:64 offset1:96
	s_waitcnt lgkmcnt(0)
	v_fma_f64 v[5:6], v[25:26], v[5:6], v[21:22]
	v_fma_f64 v[29:30], v[27:28], v[7:8], v[5:6]
	ds_read2_b64 v[5:8], v14 offset0:128 offset1:160
	ds_read_b128 v[21:24], v10 offset:96
	ds_read_b128 v[25:28], v10 offset:112
	s_waitcnt lgkmcnt(1)
	v_fma_f64 v[5:6], v[21:22], v[5:6], v[29:30]
	v_fma_f64 v[21:22], v[23:24], v[7:8], v[5:6]
	ds_read2_b64 v[5:8], v14 offset0:192 offset1:224
	s_waitcnt lgkmcnt(0)
	v_fma_f64 v[5:6], v[25:26], v[5:6], v[21:22]
	v_fma_f64 v[29:30], v[27:28], v[7:8], v[5:6]
	ds_read2_b64 v[5:8], v15 offset1:32
	ds_read_b128 v[21:24], v10 offset:128
	ds_read_b128 v[25:28], v10 offset:144
	s_waitcnt lgkmcnt(1)
	v_fma_f64 v[5:6], v[21:22], v[5:6], v[29:30]
	flat_load_dwordx2 v[29:30], v[3:4]
	v_fma_f64 v[21:22], v[23:24], v[7:8], v[5:6]
	ds_read2_b64 v[5:8], v15 offset0:64 offset1:96
	s_waitcnt lgkmcnt(0)
	v_fma_f64 v[5:6], v[25:26], v[5:6], v[21:22]
	v_fma_f64 v[31:32], v[27:28], v[7:8], v[5:6]
	ds_read2_b64 v[5:8], v15 offset0:128 offset1:160
	ds_read_b128 v[21:24], v10 offset:160
	ds_read_b128 v[25:28], v10 offset:176
	s_waitcnt lgkmcnt(1)
	v_fma_f64 v[5:6], v[21:22], v[5:6], v[31:32]
	v_fma_f64 v[21:22], v[23:24], v[7:8], v[5:6]
	ds_read2_b64 v[5:8], v15 offset0:192 offset1:224
	s_waitcnt lgkmcnt(0)
	v_fma_f64 v[5:6], v[25:26], v[5:6], v[21:22]
	v_fma_f64 v[31:32], v[27:28], v[7:8], v[5:6]
	ds_read2_b64 v[5:8], v18 offset1:32
	ds_read_b128 v[21:24], v10 offset:192
	ds_read_b128 v[25:28], v10 offset:208
	s_waitcnt lgkmcnt(1)
	v_fma_f64 v[5:6], v[21:22], v[5:6], v[31:32]
	v_fma_f64 v[21:22], v[23:24], v[7:8], v[5:6]
	ds_read2_b64 v[5:8], v18 offset0:64 offset1:96
	s_waitcnt lgkmcnt(0)
	v_fma_f64 v[5:6], v[25:26], v[5:6], v[21:22]
	v_fma_f64 v[31:32], v[27:28], v[7:8], v[5:6]
	ds_read2_b64 v[5:8], v18 offset0:128 offset1:160
	ds_read_b128 v[21:24], v10 offset:224
	ds_read_b128 v[25:28], v10 offset:240
	s_waitcnt lgkmcnt(1)
	v_fma_f64 v[5:6], v[21:22], v[5:6], v[31:32]
	v_fma_f64 v[21:22], v[23:24], v[7:8], v[5:6]
	ds_read2_b64 v[5:8], v18 offset0:192 offset1:224
	s_waitcnt lgkmcnt(0)
	v_fma_f64 v[5:6], v[25:26], v[5:6], v[21:22]
	v_fma_f64 v[5:6], v[27:28], v[7:8], v[5:6]
	s_waitcnt vmcnt(0)
	v_fma_f64 v[5:6], s[10:11], v[5:6], v[29:30]
	flat_store_dwordx2 v[3:4], v[5:6]
	s_branch .LBB39_6
.LBB39_13:
	s_endpgm
	.section	.rodata,"a",@progbits
	.p2align	6, 0x0
	.amdhsa_kernel _ZL24rocblas_symm_hemm_kernelILb0ELb0ELi32EPKdPKS1_PKPdEvbiiT2_T3_lllS8_lllT4_llli
		.amdhsa_group_segment_fixed_size 16384
		.amdhsa_private_segment_fixed_size 0
		.amdhsa_kernarg_size 384
		.amdhsa_user_sgpr_count 6
		.amdhsa_user_sgpr_private_segment_buffer 1
		.amdhsa_user_sgpr_dispatch_ptr 0
		.amdhsa_user_sgpr_queue_ptr 0
		.amdhsa_user_sgpr_kernarg_segment_ptr 1
		.amdhsa_user_sgpr_dispatch_id 0
		.amdhsa_user_sgpr_flat_scratch_init 0
		.amdhsa_user_sgpr_private_segment_size 0
		.amdhsa_wavefront_size32 1
		.amdhsa_uses_dynamic_stack 0
		.amdhsa_system_sgpr_private_segment_wavefront_offset 0
		.amdhsa_system_sgpr_workgroup_id_x 1
		.amdhsa_system_sgpr_workgroup_id_y 1
		.amdhsa_system_sgpr_workgroup_id_z 1
		.amdhsa_system_sgpr_workgroup_info 0
		.amdhsa_system_vgpr_workitem_id 1
		.amdhsa_next_free_vgpr 33
		.amdhsa_next_free_sgpr 30
		.amdhsa_reserve_vcc 1
		.amdhsa_reserve_flat_scratch 0
		.amdhsa_float_round_mode_32 0
		.amdhsa_float_round_mode_16_64 0
		.amdhsa_float_denorm_mode_32 3
		.amdhsa_float_denorm_mode_16_64 3
		.amdhsa_dx10_clamp 1
		.amdhsa_ieee_mode 1
		.amdhsa_fp16_overflow 0
		.amdhsa_workgroup_processor_mode 1
		.amdhsa_memory_ordered 1
		.amdhsa_forward_progress 1
		.amdhsa_shared_vgpr_count 0
		.amdhsa_exception_fp_ieee_invalid_op 0
		.amdhsa_exception_fp_denorm_src 0
		.amdhsa_exception_fp_ieee_div_zero 0
		.amdhsa_exception_fp_ieee_overflow 0
		.amdhsa_exception_fp_ieee_underflow 0
		.amdhsa_exception_fp_ieee_inexact 0
		.amdhsa_exception_int_div_zero 0
	.end_amdhsa_kernel
	.section	.text._ZL24rocblas_symm_hemm_kernelILb0ELb0ELi32EPKdPKS1_PKPdEvbiiT2_T3_lllS8_lllT4_llli,"axG",@progbits,_ZL24rocblas_symm_hemm_kernelILb0ELb0ELi32EPKdPKS1_PKPdEvbiiT2_T3_lllS8_lllT4_llli,comdat
.Lfunc_end39:
	.size	_ZL24rocblas_symm_hemm_kernelILb0ELb0ELi32EPKdPKS1_PKPdEvbiiT2_T3_lllS8_lllT4_llli, .Lfunc_end39-_ZL24rocblas_symm_hemm_kernelILb0ELb0ELi32EPKdPKS1_PKPdEvbiiT2_T3_lllS8_lllT4_llli
                                        ; -- End function
	.set _ZL24rocblas_symm_hemm_kernelILb0ELb0ELi32EPKdPKS1_PKPdEvbiiT2_T3_lllS8_lllT4_llli.num_vgpr, 33
	.set _ZL24rocblas_symm_hemm_kernelILb0ELb0ELi32EPKdPKS1_PKPdEvbiiT2_T3_lllS8_lllT4_llli.num_agpr, 0
	.set _ZL24rocblas_symm_hemm_kernelILb0ELb0ELi32EPKdPKS1_PKPdEvbiiT2_T3_lllS8_lllT4_llli.numbered_sgpr, 30
	.set _ZL24rocblas_symm_hemm_kernelILb0ELb0ELi32EPKdPKS1_PKPdEvbiiT2_T3_lllS8_lllT4_llli.num_named_barrier, 0
	.set _ZL24rocblas_symm_hemm_kernelILb0ELb0ELi32EPKdPKS1_PKPdEvbiiT2_T3_lllS8_lllT4_llli.private_seg_size, 0
	.set _ZL24rocblas_symm_hemm_kernelILb0ELb0ELi32EPKdPKS1_PKPdEvbiiT2_T3_lllS8_lllT4_llli.uses_vcc, 1
	.set _ZL24rocblas_symm_hemm_kernelILb0ELb0ELi32EPKdPKS1_PKPdEvbiiT2_T3_lllS8_lllT4_llli.uses_flat_scratch, 0
	.set _ZL24rocblas_symm_hemm_kernelILb0ELb0ELi32EPKdPKS1_PKPdEvbiiT2_T3_lllS8_lllT4_llli.has_dyn_sized_stack, 0
	.set _ZL24rocblas_symm_hemm_kernelILb0ELb0ELi32EPKdPKS1_PKPdEvbiiT2_T3_lllS8_lllT4_llli.has_recursion, 0
	.set _ZL24rocblas_symm_hemm_kernelILb0ELb0ELi32EPKdPKS1_PKPdEvbiiT2_T3_lllS8_lllT4_llli.has_indirect_call, 0
	.section	.AMDGPU.csdata,"",@progbits
; Kernel info:
; codeLenInByte = 1440
; TotalNumSgprs: 32
; NumVgprs: 33
; ScratchSize: 0
; MemoryBound: 0
; FloatMode: 240
; IeeeMode: 1
; LDSByteSize: 16384 bytes/workgroup (compile time only)
; SGPRBlocks: 0
; VGPRBlocks: 4
; NumSGPRsForWavesPerEU: 32
; NumVGPRsForWavesPerEU: 33
; Occupancy: 16
; WaveLimiterHint : 1
; COMPUTE_PGM_RSRC2:SCRATCH_EN: 0
; COMPUTE_PGM_RSRC2:USER_SGPR: 6
; COMPUTE_PGM_RSRC2:TRAP_HANDLER: 0
; COMPUTE_PGM_RSRC2:TGID_X_EN: 1
; COMPUTE_PGM_RSRC2:TGID_Y_EN: 1
; COMPUTE_PGM_RSRC2:TGID_Z_EN: 1
; COMPUTE_PGM_RSRC2:TIDIG_COMP_CNT: 1
	.section	.text._ZL24rocblas_symm_hemm_kernelILb0ELb1ELi32EPKdPKS1_PKPdEvbiiT2_T3_lllS8_lllT4_llli,"axG",@progbits,_ZL24rocblas_symm_hemm_kernelILb0ELb1ELi32EPKdPKS1_PKPdEvbiiT2_T3_lllS8_lllT4_llli,comdat
	.globl	_ZL24rocblas_symm_hemm_kernelILb0ELb1ELi32EPKdPKS1_PKPdEvbiiT2_T3_lllS8_lllT4_llli ; -- Begin function _ZL24rocblas_symm_hemm_kernelILb0ELb1ELi32EPKdPKS1_PKPdEvbiiT2_T3_lllS8_lllT4_llli
	.p2align	8
	.type	_ZL24rocblas_symm_hemm_kernelILb0ELb1ELi32EPKdPKS1_PKPdEvbiiT2_T3_lllS8_lllT4_llli,@function
_ZL24rocblas_symm_hemm_kernelILb0ELb1ELi32EPKdPKS1_PKPdEvbiiT2_T3_lllS8_lllT4_llli: ; @_ZL24rocblas_symm_hemm_kernelILb0ELb1ELi32EPKdPKS1_PKPdEvbiiT2_T3_lllS8_lllT4_llli
; %bb.0:
	s_load_dwordx8 s[12:19], s[4:5], 0x10
	s_waitcnt lgkmcnt(0)
	s_load_dwordx2 s[12:13], s[12:13], 0x0
	s_waitcnt lgkmcnt(0)
	v_cmp_eq_f64_e64 s0, s[12:13], 0
	s_and_b32 vcc_lo, exec_lo, s0
	s_cbranch_vccnz .LBB40_13
; %bb.1:
	s_load_dwordx4 s[20:23], s[4:5], 0x0
	s_waitcnt lgkmcnt(0)
	s_add_i32 s0, s22, -1
	s_ashr_i32 s1, s0, 31
	s_lshr_b32 s1, s1, 27
	s_add_i32 s0, s0, s1
	s_ashr_i32 s23, s0, 5
	s_cmp_gt_i32 s7, s23
	s_cbranch_scc1 .LBB40_13
; %bb.2:
	s_mov_b32 s9, 0
	v_lshl_add_u32 v2, s6, 5, v0
	s_lshl_b64 s[26:27], s[8:9], 3
	v_lshlrev_b32_e32 v4, 3, v1
	s_add_u32 s0, s14, s26
	s_addc_u32 s1, s15, s27
	s_lshl_b64 s[28:29], s[16:17], 3
	s_load_dwordx2 s[24:25], s[0:1], 0x0
	s_clause 0x3
	s_load_dwordx4 s[0:3], s[4:5], 0x38
	s_load_dwordx4 s[8:11], s[4:5], 0x58
	s_load_dwordx2 s[14:15], s[4:5], 0x48
	s_load_dwordx2 s[16:17], s[4:5], 0x68
	v_ashrrev_i32_e32 v3, 31, v2
	s_load_dword s4, s[4:5], 0x84
	v_lshlrev_b32_e32 v9, 8, v0
	v_or_b32_e32 v10, 0x2000, v4
	v_add_nc_u32_e32 v11, v9, v4
	v_add_nc_u32_e32 v12, v10, v9
	;; [unrolled: 1-line block ×5, first 2 shown]
	s_waitcnt lgkmcnt(0)
	s_add_u32 s24, s24, s28
	s_addc_u32 s25, s25, s29
	s_add_u32 s0, s0, s26
	s_addc_u32 s1, s1, s27
	;; [unrolled: 2-line block ×3, first 2 shown]
	s_load_dwordx2 s[26:27], s[0:1], 0x0
	s_load_dwordx2 s[8:9], s[8:9], 0x0
	s_bitcmp1_b32 s20, 0
	v_cmp_gt_i32_e64 s0, s21, v2
	v_lshlrev_b64 v[2:3], 3, v[2:3]
	s_cselect_b32 s1, -1, 0
	s_lshl_b64 s[10:11], s[10:11], 3
	s_waitcnt lgkmcnt(0)
	s_add_u32 s5, s8, s10
	s_addc_u32 s6, s9, s11
	s_lshl_b64 s[2:3], s[2:3], 3
	v_add_co_u32 v15, vcc_lo, s5, v2
	s_add_u32 s2, s26, s2
	v_add_co_ci_u32_e64 v16, null, s6, v3, vcc_lo
	s_addc_u32 s3, s27, s3
	v_add_co_u32 v17, vcc_lo, s2, v2
	v_add_co_ci_u32_e64 v18, null, s3, v3, vcc_lo
	s_cmp_gt_i32 s22, 0
	s_cselect_b32 s3, -1, 0
	s_branch .LBB40_4
.LBB40_3:                               ;   in Loop: Header=BB40_4 Depth=1
	s_add_i32 s7, s7, s4
	s_cmp_gt_i32 s7, s23
	s_cbranch_scc1 .LBB40_13
.LBB40_4:                               ; =>This Loop Header: Depth=1
                                        ;     Child Loop BB40_7 Depth 2
	s_andn2_b32 vcc_lo, exec_lo, s3
	s_cbranch_vccnz .LBB40_3
; %bb.5:                                ;   in Loop: Header=BB40_4 Depth=1
	v_lshl_add_u32 v20, s7, 5, v1
	s_mov_b32 s5, 0
	v_ashrrev_i32_e32 v4, 31, v20
	v_mul_lo_u32 v5, s17, v20
	v_mad_u64_u32 v[2:3], null, s16, v20, 0
	v_cmp_gt_i32_e32 vcc_lo, s22, v20
	v_mul_lo_u32 v4, s16, v4
	v_add3_u32 v3, v3, v4, v5
	v_lshlrev_b64 v[2:3], 3, v[2:3]
	v_add_co_u32 v2, s2, v15, v2
	v_add_co_ci_u32_e64 v3, null, v16, v3, s2
	s_and_b32 s2, s0, vcc_lo
	s_branch .LBB40_7
.LBB40_6:                               ;   in Loop: Header=BB40_7 Depth=2
	s_or_b32 exec_lo, exec_lo, s6
	s_add_i32 s5, s5, 32
	s_waitcnt lgkmcnt(0)
	s_waitcnt_vscnt null, 0x0
	s_cmp_ge_i32 s5, s22
	s_barrier
	buffer_gl0_inv
	s_cbranch_scc1 .LBB40_3
.LBB40_7:                               ;   Parent Loop BB40_4 Depth=1
                                        ; =>  This Inner Loop Header: Depth=2
	v_add_nc_u32_e32 v6, s5, v1
	v_mov_b32_e32 v4, 0
	v_mov_b32_e32 v7, 0
	;; [unrolled: 1-line block ×4, first 2 shown]
	v_cmp_gt_i32_e32 vcc_lo, s22, v6
	s_and_b32 s8, s0, vcc_lo
	s_and_saveexec_b32 s6, s8
	s_cbranch_execz .LBB40_9
; %bb.8:                                ;   in Loop: Header=BB40_7 Depth=2
	v_ashrrev_i32_e32 v8, 31, v6
	v_mul_lo_u32 v21, s15, v6
	v_mad_u64_u32 v[6:7], null, s14, v6, 0
	v_mul_lo_u32 v8, s14, v8
	v_add3_u32 v7, v7, v8, v21
	v_lshlrev_b64 v[6:7], 3, v[6:7]
	v_add_co_u32 v6, vcc_lo, v17, v6
	v_add_co_ci_u32_e64 v7, null, v18, v7, vcc_lo
	flat_load_dwordx2 v[7:8], v[6:7]
.LBB40_9:                               ;   in Loop: Header=BB40_7 Depth=2
	s_or_b32 exec_lo, exec_lo, s6
	v_add_nc_u32_e32 v21, s5, v0
	s_mov_b32 s6, exec_lo
	s_waitcnt vmcnt(0) lgkmcnt(0)
	ds_write_b64 v11, v[7:8]
	v_cndmask_b32_e64 v6, v20, v21, s1
	v_cndmask_b32_e64 v22, v21, v20, s1
	v_cmp_gt_i32_e32 vcc_lo, v6, v22
	v_cndmask_b32_e32 v6, v21, v20, vcc_lo
	v_cndmask_b32_e32 v21, v20, v21, vcc_lo
	v_max_i32_e32 v22, v6, v21
	v_cmpx_gt_i32_e64 s22, v22
	s_cbranch_execz .LBB40_11
; %bb.10:                               ;   in Loop: Header=BB40_7 Depth=2
	v_ashrrev_i32_e32 v7, 31, v21
	v_mul_lo_u32 v8, s19, v21
	v_mad_u64_u32 v[4:5], null, s18, v21, 0
	v_mul_lo_u32 v7, s18, v7
	v_add3_u32 v5, v5, v7, v8
	v_ashrrev_i32_e32 v7, 31, v6
	v_lshlrev_b64 v[4:5], 3, v[4:5]
	v_lshlrev_b64 v[6:7], 3, v[6:7]
	v_add_co_u32 v4, vcc_lo, s24, v4
	v_add_co_ci_u32_e64 v5, null, s25, v5, vcc_lo
	v_add_co_u32 v4, vcc_lo, v4, v6
	v_add_co_ci_u32_e64 v5, null, v5, v7, vcc_lo
	flat_load_dwordx2 v[4:5], v[4:5]
.LBB40_11:                              ;   in Loop: Header=BB40_7 Depth=2
	s_or_b32 exec_lo, exec_lo, s6
	s_waitcnt vmcnt(0) lgkmcnt(0)
	ds_write_b64 v12, v[4:5]
	s_waitcnt lgkmcnt(0)
	s_barrier
	buffer_gl0_inv
	s_and_saveexec_b32 s6, s2
	s_cbranch_execz .LBB40_6
; %bb.12:                               ;   in Loop: Header=BB40_7 Depth=2
	ds_read2_b64 v[4:7], v10 offset1:32
	ds_read_b128 v[21:24], v9
	ds_read_b128 v[25:28], v9 offset:16
	s_waitcnt lgkmcnt(1)
	v_fma_f64 v[4:5], v[21:22], v[4:5], 0
	v_fma_f64 v[21:22], v[23:24], v[6:7], v[4:5]
	ds_read2_b64 v[4:7], v10 offset0:64 offset1:96
	s_waitcnt lgkmcnt(0)
	v_fma_f64 v[4:5], v[25:26], v[4:5], v[21:22]
	v_fma_f64 v[29:30], v[27:28], v[6:7], v[4:5]
	ds_read2_b64 v[4:7], v10 offset0:128 offset1:160
	ds_read_b128 v[21:24], v9 offset:32
	ds_read_b128 v[25:28], v9 offset:48
	s_waitcnt lgkmcnt(1)
	v_fma_f64 v[4:5], v[21:22], v[4:5], v[29:30]
	v_fma_f64 v[21:22], v[23:24], v[6:7], v[4:5]
	ds_read2_b64 v[4:7], v10 offset0:192 offset1:224
	s_waitcnt lgkmcnt(0)
	v_fma_f64 v[4:5], v[25:26], v[4:5], v[21:22]
	v_fma_f64 v[29:30], v[27:28], v[6:7], v[4:5]
	ds_read2_b64 v[4:7], v13 offset1:32
	ds_read_b128 v[21:24], v9 offset:64
	ds_read_b128 v[25:28], v9 offset:80
	s_waitcnt lgkmcnt(1)
	v_fma_f64 v[4:5], v[21:22], v[4:5], v[29:30]
	v_fma_f64 v[21:22], v[23:24], v[6:7], v[4:5]
	ds_read2_b64 v[4:7], v13 offset0:64 offset1:96
	s_waitcnt lgkmcnt(0)
	v_fma_f64 v[4:5], v[25:26], v[4:5], v[21:22]
	v_fma_f64 v[29:30], v[27:28], v[6:7], v[4:5]
	ds_read2_b64 v[4:7], v13 offset0:128 offset1:160
	ds_read_b128 v[21:24], v9 offset:96
	ds_read_b128 v[25:28], v9 offset:112
	s_waitcnt lgkmcnt(1)
	v_fma_f64 v[4:5], v[21:22], v[4:5], v[29:30]
	v_fma_f64 v[21:22], v[23:24], v[6:7], v[4:5]
	ds_read2_b64 v[4:7], v13 offset0:192 offset1:224
	s_waitcnt lgkmcnt(0)
	v_fma_f64 v[4:5], v[25:26], v[4:5], v[21:22]
	v_fma_f64 v[29:30], v[27:28], v[6:7], v[4:5]
	ds_read2_b64 v[4:7], v14 offset1:32
	ds_read_b128 v[21:24], v9 offset:128
	ds_read_b128 v[25:28], v9 offset:144
	s_waitcnt lgkmcnt(1)
	v_fma_f64 v[4:5], v[21:22], v[4:5], v[29:30]
	flat_load_dwordx2 v[29:30], v[2:3]
	v_fma_f64 v[21:22], v[23:24], v[6:7], v[4:5]
	ds_read2_b64 v[4:7], v14 offset0:64 offset1:96
	s_waitcnt lgkmcnt(0)
	v_fma_f64 v[4:5], v[25:26], v[4:5], v[21:22]
	v_fma_f64 v[31:32], v[27:28], v[6:7], v[4:5]
	ds_read2_b64 v[4:7], v14 offset0:128 offset1:160
	ds_read_b128 v[21:24], v9 offset:160
	ds_read_b128 v[25:28], v9 offset:176
	s_waitcnt lgkmcnt(1)
	v_fma_f64 v[4:5], v[21:22], v[4:5], v[31:32]
	v_fma_f64 v[21:22], v[23:24], v[6:7], v[4:5]
	ds_read2_b64 v[4:7], v14 offset0:192 offset1:224
	s_waitcnt lgkmcnt(0)
	v_fma_f64 v[4:5], v[25:26], v[4:5], v[21:22]
	v_fma_f64 v[31:32], v[27:28], v[6:7], v[4:5]
	ds_read2_b64 v[4:7], v19 offset1:32
	ds_read_b128 v[21:24], v9 offset:192
	ds_read_b128 v[25:28], v9 offset:208
	s_waitcnt lgkmcnt(1)
	v_fma_f64 v[4:5], v[21:22], v[4:5], v[31:32]
	v_fma_f64 v[21:22], v[23:24], v[6:7], v[4:5]
	ds_read2_b64 v[4:7], v19 offset0:64 offset1:96
	s_waitcnt lgkmcnt(0)
	v_fma_f64 v[4:5], v[25:26], v[4:5], v[21:22]
	v_fma_f64 v[31:32], v[27:28], v[6:7], v[4:5]
	ds_read2_b64 v[4:7], v19 offset0:128 offset1:160
	ds_read_b128 v[21:24], v9 offset:224
	ds_read_b128 v[25:28], v9 offset:240
	s_waitcnt lgkmcnt(1)
	v_fma_f64 v[4:5], v[21:22], v[4:5], v[31:32]
	v_fma_f64 v[21:22], v[23:24], v[6:7], v[4:5]
	ds_read2_b64 v[4:7], v19 offset0:192 offset1:224
	s_waitcnt lgkmcnt(0)
	v_fma_f64 v[4:5], v[25:26], v[4:5], v[21:22]
	v_fma_f64 v[4:5], v[27:28], v[6:7], v[4:5]
	s_waitcnt vmcnt(0)
	v_fma_f64 v[4:5], s[12:13], v[4:5], v[29:30]
	flat_store_dwordx2 v[2:3], v[4:5]
	s_branch .LBB40_6
.LBB40_13:
	s_endpgm
	.section	.rodata,"a",@progbits
	.p2align	6, 0x0
	.amdhsa_kernel _ZL24rocblas_symm_hemm_kernelILb0ELb1ELi32EPKdPKS1_PKPdEvbiiT2_T3_lllS8_lllT4_llli
		.amdhsa_group_segment_fixed_size 16384
		.amdhsa_private_segment_fixed_size 0
		.amdhsa_kernarg_size 384
		.amdhsa_user_sgpr_count 6
		.amdhsa_user_sgpr_private_segment_buffer 1
		.amdhsa_user_sgpr_dispatch_ptr 0
		.amdhsa_user_sgpr_queue_ptr 0
		.amdhsa_user_sgpr_kernarg_segment_ptr 1
		.amdhsa_user_sgpr_dispatch_id 0
		.amdhsa_user_sgpr_flat_scratch_init 0
		.amdhsa_user_sgpr_private_segment_size 0
		.amdhsa_wavefront_size32 1
		.amdhsa_uses_dynamic_stack 0
		.amdhsa_system_sgpr_private_segment_wavefront_offset 0
		.amdhsa_system_sgpr_workgroup_id_x 1
		.amdhsa_system_sgpr_workgroup_id_y 1
		.amdhsa_system_sgpr_workgroup_id_z 1
		.amdhsa_system_sgpr_workgroup_info 0
		.amdhsa_system_vgpr_workitem_id 1
		.amdhsa_next_free_vgpr 33
		.amdhsa_next_free_sgpr 30
		.amdhsa_reserve_vcc 1
		.amdhsa_reserve_flat_scratch 0
		.amdhsa_float_round_mode_32 0
		.amdhsa_float_round_mode_16_64 0
		.amdhsa_float_denorm_mode_32 3
		.amdhsa_float_denorm_mode_16_64 3
		.amdhsa_dx10_clamp 1
		.amdhsa_ieee_mode 1
		.amdhsa_fp16_overflow 0
		.amdhsa_workgroup_processor_mode 1
		.amdhsa_memory_ordered 1
		.amdhsa_forward_progress 1
		.amdhsa_shared_vgpr_count 0
		.amdhsa_exception_fp_ieee_invalid_op 0
		.amdhsa_exception_fp_denorm_src 0
		.amdhsa_exception_fp_ieee_div_zero 0
		.amdhsa_exception_fp_ieee_overflow 0
		.amdhsa_exception_fp_ieee_underflow 0
		.amdhsa_exception_fp_ieee_inexact 0
		.amdhsa_exception_int_div_zero 0
	.end_amdhsa_kernel
	.section	.text._ZL24rocblas_symm_hemm_kernelILb0ELb1ELi32EPKdPKS1_PKPdEvbiiT2_T3_lllS8_lllT4_llli,"axG",@progbits,_ZL24rocblas_symm_hemm_kernelILb0ELb1ELi32EPKdPKS1_PKPdEvbiiT2_T3_lllS8_lllT4_llli,comdat
.Lfunc_end40:
	.size	_ZL24rocblas_symm_hemm_kernelILb0ELb1ELi32EPKdPKS1_PKPdEvbiiT2_T3_lllS8_lllT4_llli, .Lfunc_end40-_ZL24rocblas_symm_hemm_kernelILb0ELb1ELi32EPKdPKS1_PKPdEvbiiT2_T3_lllS8_lllT4_llli
                                        ; -- End function
	.set _ZL24rocblas_symm_hemm_kernelILb0ELb1ELi32EPKdPKS1_PKPdEvbiiT2_T3_lllS8_lllT4_llli.num_vgpr, 33
	.set _ZL24rocblas_symm_hemm_kernelILb0ELb1ELi32EPKdPKS1_PKPdEvbiiT2_T3_lllS8_lllT4_llli.num_agpr, 0
	.set _ZL24rocblas_symm_hemm_kernelILb0ELb1ELi32EPKdPKS1_PKPdEvbiiT2_T3_lllS8_lllT4_llli.numbered_sgpr, 30
	.set _ZL24rocblas_symm_hemm_kernelILb0ELb1ELi32EPKdPKS1_PKPdEvbiiT2_T3_lllS8_lllT4_llli.num_named_barrier, 0
	.set _ZL24rocblas_symm_hemm_kernelILb0ELb1ELi32EPKdPKS1_PKPdEvbiiT2_T3_lllS8_lllT4_llli.private_seg_size, 0
	.set _ZL24rocblas_symm_hemm_kernelILb0ELb1ELi32EPKdPKS1_PKPdEvbiiT2_T3_lllS8_lllT4_llli.uses_vcc, 1
	.set _ZL24rocblas_symm_hemm_kernelILb0ELb1ELi32EPKdPKS1_PKPdEvbiiT2_T3_lllS8_lllT4_llli.uses_flat_scratch, 0
	.set _ZL24rocblas_symm_hemm_kernelILb0ELb1ELi32EPKdPKS1_PKPdEvbiiT2_T3_lllS8_lllT4_llli.has_dyn_sized_stack, 0
	.set _ZL24rocblas_symm_hemm_kernelILb0ELb1ELi32EPKdPKS1_PKPdEvbiiT2_T3_lllS8_lllT4_llli.has_recursion, 0
	.set _ZL24rocblas_symm_hemm_kernelILb0ELb1ELi32EPKdPKS1_PKPdEvbiiT2_T3_lllS8_lllT4_llli.has_indirect_call, 0
	.section	.AMDGPU.csdata,"",@progbits
; Kernel info:
; codeLenInByte = 1412
; TotalNumSgprs: 32
; NumVgprs: 33
; ScratchSize: 0
; MemoryBound: 0
; FloatMode: 240
; IeeeMode: 1
; LDSByteSize: 16384 bytes/workgroup (compile time only)
; SGPRBlocks: 0
; VGPRBlocks: 4
; NumSGPRsForWavesPerEU: 32
; NumVGPRsForWavesPerEU: 33
; Occupancy: 16
; WaveLimiterHint : 1
; COMPUTE_PGM_RSRC2:SCRATCH_EN: 0
; COMPUTE_PGM_RSRC2:USER_SGPR: 6
; COMPUTE_PGM_RSRC2:TRAP_HANDLER: 0
; COMPUTE_PGM_RSRC2:TGID_X_EN: 1
; COMPUTE_PGM_RSRC2:TGID_Y_EN: 1
; COMPUTE_PGM_RSRC2:TGID_Z_EN: 1
; COMPUTE_PGM_RSRC2:TIDIG_COMP_CNT: 1
	.section	.text._ZL25rocblas_symm_scale_kernelILi128ELi8EdPKPdEviiT1_T2_llli,"axG",@progbits,_ZL25rocblas_symm_scale_kernelILi128ELi8EdPKPdEviiT1_T2_llli,comdat
	.globl	_ZL25rocblas_symm_scale_kernelILi128ELi8EdPKPdEviiT1_T2_llli ; -- Begin function _ZL25rocblas_symm_scale_kernelILi128ELi8EdPKPdEviiT1_T2_llli
	.p2align	8
	.type	_ZL25rocblas_symm_scale_kernelILi128ELi8EdPKPdEviiT1_T2_llli,@function
_ZL25rocblas_symm_scale_kernelILi128ELi8EdPKPdEviiT1_T2_llli: ; @_ZL25rocblas_symm_scale_kernelILi128ELi8EdPKPdEviiT1_T2_llli
; %bb.0:
	s_load_dwordx8 s[12:19], s[4:5], 0x8
	s_waitcnt lgkmcnt(0)
	v_cmp_eq_f64_e64 s0, s[12:13], 1.0
	s_and_b32 vcc_lo, exec_lo, s0
	s_cbranch_vccnz .LBB41_7
; %bb.1:
	s_load_dwordx2 s[0:1], s[4:5], 0x0
	v_lshl_add_u32 v1, s7, 3, v1
	v_mov_b32_e32 v2, 0
	v_lshl_add_u32 v3, s6, 7, v0
	s_waitcnt lgkmcnt(0)
	s_ashr_i32 s3, s1, 31
	s_mov_b32 s2, s1
	v_cmp_gt_u32_e64 s0, s0, v3
	v_cmp_gt_i64_e32 vcc_lo, s[2:3], v[1:2]
	s_and_b32 s0, s0, vcc_lo
	s_and_saveexec_b32 s1, s0
	s_cbranch_execz .LBB41_7
; %bb.2:
	v_mad_u64_u32 v[5:6], null, s18, v1, 0
	s_load_dword s10, s[4:5], 0x3c
	s_mov_b32 s9, 0
	v_mov_b32_e32 v4, v2
	s_lshl_b64 s[0:1], s[8:9], 3
	s_add_u32 s0, s14, s0
	v_mov_b32_e32 v0, v6
	s_addc_u32 s1, s15, s1
	s_lshl_b64 s[6:7], s[16:17], 3
	s_load_dwordx2 s[4:5], s[0:1], 0x0
	v_lshlrev_b64 v[3:4], 3, v[3:4]
	v_mad_u64_u32 v[6:7], null, s19, v1, v[0:1]
	v_lshlrev_b64 v[5:6], 3, v[5:6]
	s_waitcnt lgkmcnt(0)
	s_lshl_b32 s1, s10, 3
	s_mul_i32 s0, s19, s1
	s_mul_i32 s10, s18, s1
	v_add_co_u32 v0, vcc_lo, v5, s6
	s_mul_hi_u32 s6, s18, s1
	v_add_co_ci_u32_e64 v5, null, s7, v6, vcc_lo
	s_add_i32 s11, s6, s0
	v_cmp_neq_f64_e64 s6, s[12:13], 0
	v_add_co_u32 v0, vcc_lo, v0, v3
	v_add_co_ci_u32_e64 v4, null, v5, v4, vcc_lo
	v_add_co_u32 v3, vcc_lo, s4, v0
	v_add_co_ci_u32_e64 v4, null, s5, v4, vcc_lo
	s_lshl_b64 s[4:5], s[10:11], 3
	s_branch .LBB41_5
	.p2align	6
.LBB41_3:                               ;   in Loop: Header=BB41_5 Depth=1
	flat_load_dwordx2 v[5:6], v[3:4]
	s_waitcnt vmcnt(0) lgkmcnt(0)
	v_mul_f64 v[5:6], s[12:13], v[5:6]
.LBB41_4:                               ;   in Loop: Header=BB41_5 Depth=1
	v_add_co_u32 v1, vcc_lo, v1, s1
	v_add_co_ci_u32_e64 v2, null, 0, v2, vcc_lo
	flat_store_dwordx2 v[3:4], v[5:6]
	v_add_co_u32 v3, s0, v3, s4
	v_cmp_le_i64_e32 vcc_lo, s[2:3], v[1:2]
	v_add_co_ci_u32_e64 v4, null, s5, v4, s0
	s_or_b32 s9, vcc_lo, s9
	s_andn2_b32 exec_lo, exec_lo, s9
	s_cbranch_execz .LBB41_7
.LBB41_5:                               ; =>This Inner Loop Header: Depth=1
	s_andn2_b32 vcc_lo, exec_lo, s6
	s_cbranch_vccz .LBB41_3
; %bb.6:                                ;   in Loop: Header=BB41_5 Depth=1
	v_mov_b32_e32 v5, 0
	v_mov_b32_e32 v6, 0
	s_branch .LBB41_4
.LBB41_7:
	s_endpgm
	.section	.rodata,"a",@progbits
	.p2align	6, 0x0
	.amdhsa_kernel _ZL25rocblas_symm_scale_kernelILi128ELi8EdPKPdEviiT1_T2_llli
		.amdhsa_group_segment_fixed_size 0
		.amdhsa_private_segment_fixed_size 0
		.amdhsa_kernarg_size 312
		.amdhsa_user_sgpr_count 6
		.amdhsa_user_sgpr_private_segment_buffer 1
		.amdhsa_user_sgpr_dispatch_ptr 0
		.amdhsa_user_sgpr_queue_ptr 0
		.amdhsa_user_sgpr_kernarg_segment_ptr 1
		.amdhsa_user_sgpr_dispatch_id 0
		.amdhsa_user_sgpr_flat_scratch_init 0
		.amdhsa_user_sgpr_private_segment_size 0
		.amdhsa_wavefront_size32 1
		.amdhsa_uses_dynamic_stack 0
		.amdhsa_system_sgpr_private_segment_wavefront_offset 0
		.amdhsa_system_sgpr_workgroup_id_x 1
		.amdhsa_system_sgpr_workgroup_id_y 1
		.amdhsa_system_sgpr_workgroup_id_z 1
		.amdhsa_system_sgpr_workgroup_info 0
		.amdhsa_system_vgpr_workitem_id 1
		.amdhsa_next_free_vgpr 8
		.amdhsa_next_free_sgpr 20
		.amdhsa_reserve_vcc 1
		.amdhsa_reserve_flat_scratch 0
		.amdhsa_float_round_mode_32 0
		.amdhsa_float_round_mode_16_64 0
		.amdhsa_float_denorm_mode_32 3
		.amdhsa_float_denorm_mode_16_64 3
		.amdhsa_dx10_clamp 1
		.amdhsa_ieee_mode 1
		.amdhsa_fp16_overflow 0
		.amdhsa_workgroup_processor_mode 1
		.amdhsa_memory_ordered 1
		.amdhsa_forward_progress 1
		.amdhsa_shared_vgpr_count 0
		.amdhsa_exception_fp_ieee_invalid_op 0
		.amdhsa_exception_fp_denorm_src 0
		.amdhsa_exception_fp_ieee_div_zero 0
		.amdhsa_exception_fp_ieee_overflow 0
		.amdhsa_exception_fp_ieee_underflow 0
		.amdhsa_exception_fp_ieee_inexact 0
		.amdhsa_exception_int_div_zero 0
	.end_amdhsa_kernel
	.section	.text._ZL25rocblas_symm_scale_kernelILi128ELi8EdPKPdEviiT1_T2_llli,"axG",@progbits,_ZL25rocblas_symm_scale_kernelILi128ELi8EdPKPdEviiT1_T2_llli,comdat
.Lfunc_end41:
	.size	_ZL25rocblas_symm_scale_kernelILi128ELi8EdPKPdEviiT1_T2_llli, .Lfunc_end41-_ZL25rocblas_symm_scale_kernelILi128ELi8EdPKPdEviiT1_T2_llli
                                        ; -- End function
	.set _ZL25rocblas_symm_scale_kernelILi128ELi8EdPKPdEviiT1_T2_llli.num_vgpr, 8
	.set _ZL25rocblas_symm_scale_kernelILi128ELi8EdPKPdEviiT1_T2_llli.num_agpr, 0
	.set _ZL25rocblas_symm_scale_kernelILi128ELi8EdPKPdEviiT1_T2_llli.numbered_sgpr, 20
	.set _ZL25rocblas_symm_scale_kernelILi128ELi8EdPKPdEviiT1_T2_llli.num_named_barrier, 0
	.set _ZL25rocblas_symm_scale_kernelILi128ELi8EdPKPdEviiT1_T2_llli.private_seg_size, 0
	.set _ZL25rocblas_symm_scale_kernelILi128ELi8EdPKPdEviiT1_T2_llli.uses_vcc, 1
	.set _ZL25rocblas_symm_scale_kernelILi128ELi8EdPKPdEviiT1_T2_llli.uses_flat_scratch, 0
	.set _ZL25rocblas_symm_scale_kernelILi128ELi8EdPKPdEviiT1_T2_llli.has_dyn_sized_stack, 0
	.set _ZL25rocblas_symm_scale_kernelILi128ELi8EdPKPdEviiT1_T2_llli.has_recursion, 0
	.set _ZL25rocblas_symm_scale_kernelILi128ELi8EdPKPdEviiT1_T2_llli.has_indirect_call, 0
	.section	.AMDGPU.csdata,"",@progbits
; Kernel info:
; codeLenInByte = 356
; TotalNumSgprs: 22
; NumVgprs: 8
; ScratchSize: 0
; MemoryBound: 1
; FloatMode: 240
; IeeeMode: 1
; LDSByteSize: 0 bytes/workgroup (compile time only)
; SGPRBlocks: 0
; VGPRBlocks: 0
; NumSGPRsForWavesPerEU: 22
; NumVGPRsForWavesPerEU: 8
; Occupancy: 16
; WaveLimiterHint : 0
; COMPUTE_PGM_RSRC2:SCRATCH_EN: 0
; COMPUTE_PGM_RSRC2:USER_SGPR: 6
; COMPUTE_PGM_RSRC2:TRAP_HANDLER: 0
; COMPUTE_PGM_RSRC2:TGID_X_EN: 1
; COMPUTE_PGM_RSRC2:TGID_Y_EN: 1
; COMPUTE_PGM_RSRC2:TGID_Z_EN: 1
; COMPUTE_PGM_RSRC2:TIDIG_COMP_CNT: 1
	.section	.text._ZL24rocblas_symm_hemm_kernelILb0ELb0ELi32EdPKPKdPKPdEvbiiT2_T3_lllS8_lllT4_llli,"axG",@progbits,_ZL24rocblas_symm_hemm_kernelILb0ELb0ELi32EdPKPKdPKPdEvbiiT2_T3_lllS8_lllT4_llli,comdat
	.globl	_ZL24rocblas_symm_hemm_kernelILb0ELb0ELi32EdPKPKdPKPdEvbiiT2_T3_lllS8_lllT4_llli ; -- Begin function _ZL24rocblas_symm_hemm_kernelILb0ELb0ELi32EdPKPKdPKPdEvbiiT2_T3_lllS8_lllT4_llli
	.p2align	8
	.type	_ZL24rocblas_symm_hemm_kernelILb0ELb0ELi32EdPKPKdPKPdEvbiiT2_T3_lllS8_lllT4_llli,@function
_ZL24rocblas_symm_hemm_kernelILb0ELb0ELi32EdPKPKdPKPdEvbiiT2_T3_lllS8_lllT4_llli: ; @_ZL24rocblas_symm_hemm_kernelILb0ELb0ELi32EdPKPKdPKPdEvbiiT2_T3_lllS8_lllT4_llli
; %bb.0:
	s_load_dwordx8 s[12:19], s[4:5], 0x10
	s_waitcnt lgkmcnt(0)
	v_cmp_eq_f64_e64 s0, s[12:13], 0
	s_and_b32 vcc_lo, exec_lo, s0
	s_cbranch_vccnz .LBB42_13
; %bb.1:
	s_load_dwordx4 s[20:23], s[4:5], 0x0
	s_waitcnt lgkmcnt(0)
	s_add_i32 s0, s22, -1
	s_ashr_i32 s1, s0, 31
	s_lshr_b32 s1, s1, 27
	s_add_i32 s0, s0, s1
	s_ashr_i32 s23, s0, 5
	s_cmp_gt_i32 s7, s23
	s_cbranch_scc1 .LBB42_13
; %bb.2:
	s_mov_b32 s9, 0
	v_lshl_add_u32 v2, s6, 5, v0
	s_lshl_b64 s[28:29], s[8:9], 3
	s_clause 0x1
	s_load_dwordx2 s[8:9], s[4:5], 0x48
	s_load_dwordx2 s[10:11], s[4:5], 0x68
	s_add_u32 s0, s14, s28
	s_addc_u32 s1, s15, s29
	s_load_dwordx2 s[0:1], s[0:1], 0x0
	s_load_dwordx4 s[24:27], s[4:5], 0x38
	s_lshl_b64 s[2:3], s[16:17], 3
	v_lshlrev_b32_e32 v4, 3, v1
	v_lshlrev_b32_e32 v10, 8, v0
	v_ashrrev_i32_e32 v3, 31, v2
	v_or_b32_e32 v11, 0x2000, v4
	v_add_nc_u32_e32 v12, v10, v4
	v_lshlrev_b64 v[3:4], 3, v[2:3]
	v_add_nc_u32_e32 v13, v11, v10
	v_add_nc_u32_e32 v14, 0x800, v11
	;; [unrolled: 1-line block ×4, first 2 shown]
	s_waitcnt lgkmcnt(0)
	s_add_u32 s14, s0, s2
	s_addc_u32 s15, s1, s3
	s_add_u32 s0, s24, s28
	s_addc_u32 s1, s25, s29
	s_load_dwordx2 s[16:17], s[0:1], 0x0
	s_load_dwordx4 s[0:3], s[4:5], 0x58
	s_lshl_b64 s[24:25], s[26:27], 3
	s_load_dword s4, s[4:5], 0x84
	s_waitcnt lgkmcnt(0)
	s_add_u32 s16, s16, s24
	s_addc_u32 s17, s17, s25
	s_add_u32 s0, s0, s28
	s_addc_u32 s1, s1, s29
	s_bitcmp1_b32 s20, 0
	s_load_dwordx2 s[24:25], s[0:1], 0x0
	s_cselect_b32 s1, -1, 0
	s_lshl_b64 s[2:3], s[2:3], 3
	v_cmp_gt_i32_e64 s0, s21, v2
	s_waitcnt lgkmcnt(0)
	s_add_u32 s2, s24, s2
	s_addc_u32 s3, s25, s3
	v_add_co_u32 v16, vcc_lo, s2, v3
	v_add_co_ci_u32_e64 v17, null, s3, v4, vcc_lo
	s_cmp_gt_i32 s21, 0
	s_cselect_b32 s3, -1, 0
	s_branch .LBB42_4
.LBB42_3:                               ;   in Loop: Header=BB42_4 Depth=1
	s_add_i32 s7, s7, s4
	s_cmp_gt_i32 s7, s23
	s_cbranch_scc1 .LBB42_13
.LBB42_4:                               ; =>This Loop Header: Depth=1
                                        ;     Child Loop BB42_7 Depth 2
	s_andn2_b32 vcc_lo, exec_lo, s3
	s_cbranch_vccnz .LBB42_3
; %bb.5:                                ;   in Loop: Header=BB42_4 Depth=1
	v_lshl_add_u32 v7, s7, 5, v1
	s_mov_b32 s6, 0
	v_ashrrev_i32_e32 v8, 31, v7
	v_mul_lo_u32 v9, s9, v7
	v_mad_u64_u32 v[3:4], null, s8, v7, 0
	v_mul_lo_u32 v20, s11, v7
	v_mul_lo_u32 v19, s8, v8
	v_mad_u64_u32 v[5:6], null, s10, v7, 0
	v_mul_lo_u32 v8, s10, v8
	v_cmp_gt_i32_e32 vcc_lo, s22, v7
	v_add3_u32 v4, v4, v19, v9
	s_and_b32 s5, s0, vcc_lo
	v_add3_u32 v6, v6, v8, v20
	v_lshlrev_b64 v[3:4], 3, v[3:4]
	v_lshlrev_b64 v[5:6], 3, v[5:6]
	v_add_co_u32 v19, s2, s16, v3
	v_add_co_ci_u32_e64 v20, null, s17, v4, s2
	v_add_co_u32 v3, s2, v16, v5
	v_add_co_ci_u32_e64 v4, null, v17, v6, s2
	s_branch .LBB42_7
.LBB42_6:                               ;   in Loop: Header=BB42_7 Depth=2
	s_or_b32 exec_lo, exec_lo, s2
	s_add_i32 s6, s6, 32
	s_waitcnt lgkmcnt(0)
	s_waitcnt_vscnt null, 0x0
	s_cmp_ge_i32 s6, s21
	s_barrier
	buffer_gl0_inv
	s_cbranch_scc1 .LBB42_3
.LBB42_7:                               ;   Parent Loop BB42_4 Depth=1
                                        ; =>  This Inner Loop Header: Depth=2
	v_add_nc_u32_e32 v5, s6, v1
	v_mov_b32_e32 v8, 0
	v_mov_b32_e32 v9, 0
	s_mov_b32 s20, exec_lo
	v_cndmask_b32_e64 v6, v5, v2, s1
	v_cndmask_b32_e64 v7, v2, v5, s1
	v_cmp_gt_i32_e64 s2, v6, v7
	v_cndmask_b32_e64 v7, v2, v5, s2
	v_cndmask_b32_e64 v21, v5, v2, s2
	v_mov_b32_e32 v5, 0
	v_mov_b32_e32 v6, 0
	v_max_i32_e32 v22, v7, v21
	v_cmpx_gt_i32_e64 s21, v22
	s_cbranch_execz .LBB42_9
; %bb.8:                                ;   in Loop: Header=BB42_7 Depth=2
	v_ashrrev_i32_e32 v8, 31, v21
	v_mul_lo_u32 v9, s19, v21
	v_mad_u64_u32 v[21:22], null, s18, v21, 0
	v_mul_lo_u32 v8, s18, v8
	v_add3_u32 v22, v22, v8, v9
	v_ashrrev_i32_e32 v8, 31, v7
	v_lshlrev_b64 v[21:22], 3, v[21:22]
	v_lshlrev_b64 v[7:8], 3, v[7:8]
	v_add_co_u32 v9, s2, s14, v21
	v_add_co_ci_u32_e64 v21, null, s15, v22, s2
	v_add_co_u32 v7, s2, v9, v7
	v_add_co_ci_u32_e64 v8, null, v21, v8, s2
	flat_load_dwordx2 v[8:9], v[7:8]
.LBB42_9:                               ;   in Loop: Header=BB42_7 Depth=2
	s_or_b32 exec_lo, exec_lo, s20
	v_add_nc_u32_e32 v7, s6, v0
	s_waitcnt vmcnt(0) lgkmcnt(0)
	ds_write_b64 v12, v[8:9]
	v_cmp_gt_i32_e64 s2, s21, v7
	s_and_b32 s2, s2, vcc_lo
	s_and_saveexec_b32 s20, s2
	s_cbranch_execz .LBB42_11
; %bb.10:                               ;   in Loop: Header=BB42_7 Depth=2
	v_ashrrev_i32_e32 v8, 31, v7
	v_lshlrev_b64 v[5:6], 3, v[7:8]
	v_add_co_u32 v5, s2, v19, v5
	v_add_co_ci_u32_e64 v6, null, v20, v6, s2
	flat_load_dwordx2 v[5:6], v[5:6]
.LBB42_11:                              ;   in Loop: Header=BB42_7 Depth=2
	s_or_b32 exec_lo, exec_lo, s20
	s_waitcnt vmcnt(0) lgkmcnt(0)
	ds_write_b64 v13, v[5:6]
	s_waitcnt lgkmcnt(0)
	s_barrier
	buffer_gl0_inv
	s_and_saveexec_b32 s2, s5
	s_cbranch_execz .LBB42_6
; %bb.12:                               ;   in Loop: Header=BB42_7 Depth=2
	ds_read2_b64 v[5:8], v11 offset1:32
	ds_read_b128 v[21:24], v10
	ds_read_b128 v[25:28], v10 offset:16
	s_waitcnt lgkmcnt(1)
	v_fma_f64 v[5:6], v[21:22], v[5:6], 0
	v_fma_f64 v[21:22], v[23:24], v[7:8], v[5:6]
	ds_read2_b64 v[5:8], v11 offset0:64 offset1:96
	s_waitcnt lgkmcnt(0)
	v_fma_f64 v[5:6], v[25:26], v[5:6], v[21:22]
	v_fma_f64 v[29:30], v[27:28], v[7:8], v[5:6]
	ds_read2_b64 v[5:8], v11 offset0:128 offset1:160
	ds_read_b128 v[21:24], v10 offset:32
	ds_read_b128 v[25:28], v10 offset:48
	s_waitcnt lgkmcnt(1)
	v_fma_f64 v[5:6], v[21:22], v[5:6], v[29:30]
	v_fma_f64 v[21:22], v[23:24], v[7:8], v[5:6]
	ds_read2_b64 v[5:8], v11 offset0:192 offset1:224
	s_waitcnt lgkmcnt(0)
	v_fma_f64 v[5:6], v[25:26], v[5:6], v[21:22]
	v_fma_f64 v[29:30], v[27:28], v[7:8], v[5:6]
	ds_read2_b64 v[5:8], v14 offset1:32
	ds_read_b128 v[21:24], v10 offset:64
	ds_read_b128 v[25:28], v10 offset:80
	s_waitcnt lgkmcnt(1)
	v_fma_f64 v[5:6], v[21:22], v[5:6], v[29:30]
	v_fma_f64 v[21:22], v[23:24], v[7:8], v[5:6]
	ds_read2_b64 v[5:8], v14 offset0:64 offset1:96
	s_waitcnt lgkmcnt(0)
	v_fma_f64 v[5:6], v[25:26], v[5:6], v[21:22]
	v_fma_f64 v[29:30], v[27:28], v[7:8], v[5:6]
	ds_read2_b64 v[5:8], v14 offset0:128 offset1:160
	ds_read_b128 v[21:24], v10 offset:96
	ds_read_b128 v[25:28], v10 offset:112
	s_waitcnt lgkmcnt(1)
	v_fma_f64 v[5:6], v[21:22], v[5:6], v[29:30]
	v_fma_f64 v[21:22], v[23:24], v[7:8], v[5:6]
	ds_read2_b64 v[5:8], v14 offset0:192 offset1:224
	s_waitcnt lgkmcnt(0)
	v_fma_f64 v[5:6], v[25:26], v[5:6], v[21:22]
	v_fma_f64 v[29:30], v[27:28], v[7:8], v[5:6]
	ds_read2_b64 v[5:8], v15 offset1:32
	ds_read_b128 v[21:24], v10 offset:128
	ds_read_b128 v[25:28], v10 offset:144
	s_waitcnt lgkmcnt(1)
	v_fma_f64 v[5:6], v[21:22], v[5:6], v[29:30]
	flat_load_dwordx2 v[29:30], v[3:4]
	v_fma_f64 v[21:22], v[23:24], v[7:8], v[5:6]
	ds_read2_b64 v[5:8], v15 offset0:64 offset1:96
	s_waitcnt lgkmcnt(0)
	v_fma_f64 v[5:6], v[25:26], v[5:6], v[21:22]
	v_fma_f64 v[31:32], v[27:28], v[7:8], v[5:6]
	ds_read2_b64 v[5:8], v15 offset0:128 offset1:160
	ds_read_b128 v[21:24], v10 offset:160
	ds_read_b128 v[25:28], v10 offset:176
	s_waitcnt lgkmcnt(1)
	v_fma_f64 v[5:6], v[21:22], v[5:6], v[31:32]
	v_fma_f64 v[21:22], v[23:24], v[7:8], v[5:6]
	ds_read2_b64 v[5:8], v15 offset0:192 offset1:224
	s_waitcnt lgkmcnt(0)
	v_fma_f64 v[5:6], v[25:26], v[5:6], v[21:22]
	v_fma_f64 v[31:32], v[27:28], v[7:8], v[5:6]
	ds_read2_b64 v[5:8], v18 offset1:32
	ds_read_b128 v[21:24], v10 offset:192
	ds_read_b128 v[25:28], v10 offset:208
	s_waitcnt lgkmcnt(1)
	v_fma_f64 v[5:6], v[21:22], v[5:6], v[31:32]
	v_fma_f64 v[21:22], v[23:24], v[7:8], v[5:6]
	ds_read2_b64 v[5:8], v18 offset0:64 offset1:96
	s_waitcnt lgkmcnt(0)
	v_fma_f64 v[5:6], v[25:26], v[5:6], v[21:22]
	v_fma_f64 v[31:32], v[27:28], v[7:8], v[5:6]
	ds_read2_b64 v[5:8], v18 offset0:128 offset1:160
	ds_read_b128 v[21:24], v10 offset:224
	ds_read_b128 v[25:28], v10 offset:240
	s_waitcnt lgkmcnt(1)
	v_fma_f64 v[5:6], v[21:22], v[5:6], v[31:32]
	v_fma_f64 v[21:22], v[23:24], v[7:8], v[5:6]
	ds_read2_b64 v[5:8], v18 offset0:192 offset1:224
	s_waitcnt lgkmcnt(0)
	v_fma_f64 v[5:6], v[25:26], v[5:6], v[21:22]
	v_fma_f64 v[5:6], v[27:28], v[7:8], v[5:6]
	s_waitcnt vmcnt(0)
	v_fma_f64 v[5:6], s[12:13], v[5:6], v[29:30]
	flat_store_dwordx2 v[3:4], v[5:6]
	s_branch .LBB42_6
.LBB42_13:
	s_endpgm
	.section	.rodata,"a",@progbits
	.p2align	6, 0x0
	.amdhsa_kernel _ZL24rocblas_symm_hemm_kernelILb0ELb0ELi32EdPKPKdPKPdEvbiiT2_T3_lllS8_lllT4_llli
		.amdhsa_group_segment_fixed_size 16384
		.amdhsa_private_segment_fixed_size 0
		.amdhsa_kernarg_size 384
		.amdhsa_user_sgpr_count 6
		.amdhsa_user_sgpr_private_segment_buffer 1
		.amdhsa_user_sgpr_dispatch_ptr 0
		.amdhsa_user_sgpr_queue_ptr 0
		.amdhsa_user_sgpr_kernarg_segment_ptr 1
		.amdhsa_user_sgpr_dispatch_id 0
		.amdhsa_user_sgpr_flat_scratch_init 0
		.amdhsa_user_sgpr_private_segment_size 0
		.amdhsa_wavefront_size32 1
		.amdhsa_uses_dynamic_stack 0
		.amdhsa_system_sgpr_private_segment_wavefront_offset 0
		.amdhsa_system_sgpr_workgroup_id_x 1
		.amdhsa_system_sgpr_workgroup_id_y 1
		.amdhsa_system_sgpr_workgroup_id_z 1
		.amdhsa_system_sgpr_workgroup_info 0
		.amdhsa_system_vgpr_workitem_id 1
		.amdhsa_next_free_vgpr 33
		.amdhsa_next_free_sgpr 30
		.amdhsa_reserve_vcc 1
		.amdhsa_reserve_flat_scratch 0
		.amdhsa_float_round_mode_32 0
		.amdhsa_float_round_mode_16_64 0
		.amdhsa_float_denorm_mode_32 3
		.amdhsa_float_denorm_mode_16_64 3
		.amdhsa_dx10_clamp 1
		.amdhsa_ieee_mode 1
		.amdhsa_fp16_overflow 0
		.amdhsa_workgroup_processor_mode 1
		.amdhsa_memory_ordered 1
		.amdhsa_forward_progress 1
		.amdhsa_shared_vgpr_count 0
		.amdhsa_exception_fp_ieee_invalid_op 0
		.amdhsa_exception_fp_denorm_src 0
		.amdhsa_exception_fp_ieee_div_zero 0
		.amdhsa_exception_fp_ieee_overflow 0
		.amdhsa_exception_fp_ieee_underflow 0
		.amdhsa_exception_fp_ieee_inexact 0
		.amdhsa_exception_int_div_zero 0
	.end_amdhsa_kernel
	.section	.text._ZL24rocblas_symm_hemm_kernelILb0ELb0ELi32EdPKPKdPKPdEvbiiT2_T3_lllS8_lllT4_llli,"axG",@progbits,_ZL24rocblas_symm_hemm_kernelILb0ELb0ELi32EdPKPKdPKPdEvbiiT2_T3_lllS8_lllT4_llli,comdat
.Lfunc_end42:
	.size	_ZL24rocblas_symm_hemm_kernelILb0ELb0ELi32EdPKPKdPKPdEvbiiT2_T3_lllS8_lllT4_llli, .Lfunc_end42-_ZL24rocblas_symm_hemm_kernelILb0ELb0ELi32EdPKPKdPKPdEvbiiT2_T3_lllS8_lllT4_llli
                                        ; -- End function
	.set _ZL24rocblas_symm_hemm_kernelILb0ELb0ELi32EdPKPKdPKPdEvbiiT2_T3_lllS8_lllT4_llli.num_vgpr, 33
	.set _ZL24rocblas_symm_hemm_kernelILb0ELb0ELi32EdPKPKdPKPdEvbiiT2_T3_lllS8_lllT4_llli.num_agpr, 0
	.set _ZL24rocblas_symm_hemm_kernelILb0ELb0ELi32EdPKPKdPKPdEvbiiT2_T3_lllS8_lllT4_llli.numbered_sgpr, 30
	.set _ZL24rocblas_symm_hemm_kernelILb0ELb0ELi32EdPKPKdPKPdEvbiiT2_T3_lllS8_lllT4_llli.num_named_barrier, 0
	.set _ZL24rocblas_symm_hemm_kernelILb0ELb0ELi32EdPKPKdPKPdEvbiiT2_T3_lllS8_lllT4_llli.private_seg_size, 0
	.set _ZL24rocblas_symm_hemm_kernelILb0ELb0ELi32EdPKPKdPKPdEvbiiT2_T3_lllS8_lllT4_llli.uses_vcc, 1
	.set _ZL24rocblas_symm_hemm_kernelILb0ELb0ELi32EdPKPKdPKPdEvbiiT2_T3_lllS8_lllT4_llli.uses_flat_scratch, 0
	.set _ZL24rocblas_symm_hemm_kernelILb0ELb0ELi32EdPKPKdPKPdEvbiiT2_T3_lllS8_lllT4_llli.has_dyn_sized_stack, 0
	.set _ZL24rocblas_symm_hemm_kernelILb0ELb0ELi32EdPKPKdPKPdEvbiiT2_T3_lllS8_lllT4_llli.has_recursion, 0
	.set _ZL24rocblas_symm_hemm_kernelILb0ELb0ELi32EdPKPKdPKPdEvbiiT2_T3_lllS8_lllT4_llli.has_indirect_call, 0
	.section	.AMDGPU.csdata,"",@progbits
; Kernel info:
; codeLenInByte = 1428
; TotalNumSgprs: 32
; NumVgprs: 33
; ScratchSize: 0
; MemoryBound: 0
; FloatMode: 240
; IeeeMode: 1
; LDSByteSize: 16384 bytes/workgroup (compile time only)
; SGPRBlocks: 0
; VGPRBlocks: 4
; NumSGPRsForWavesPerEU: 32
; NumVGPRsForWavesPerEU: 33
; Occupancy: 16
; WaveLimiterHint : 1
; COMPUTE_PGM_RSRC2:SCRATCH_EN: 0
; COMPUTE_PGM_RSRC2:USER_SGPR: 6
; COMPUTE_PGM_RSRC2:TRAP_HANDLER: 0
; COMPUTE_PGM_RSRC2:TGID_X_EN: 1
; COMPUTE_PGM_RSRC2:TGID_Y_EN: 1
; COMPUTE_PGM_RSRC2:TGID_Z_EN: 1
; COMPUTE_PGM_RSRC2:TIDIG_COMP_CNT: 1
	.section	.text._ZL24rocblas_symm_hemm_kernelILb0ELb1ELi32EdPKPKdPKPdEvbiiT2_T3_lllS8_lllT4_llli,"axG",@progbits,_ZL24rocblas_symm_hemm_kernelILb0ELb1ELi32EdPKPKdPKPdEvbiiT2_T3_lllS8_lllT4_llli,comdat
	.globl	_ZL24rocblas_symm_hemm_kernelILb0ELb1ELi32EdPKPKdPKPdEvbiiT2_T3_lllS8_lllT4_llli ; -- Begin function _ZL24rocblas_symm_hemm_kernelILb0ELb1ELi32EdPKPKdPKPdEvbiiT2_T3_lllS8_lllT4_llli
	.p2align	8
	.type	_ZL24rocblas_symm_hemm_kernelILb0ELb1ELi32EdPKPKdPKPdEvbiiT2_T3_lllS8_lllT4_llli,@function
_ZL24rocblas_symm_hemm_kernelILb0ELb1ELi32EdPKPKdPKPdEvbiiT2_T3_lllS8_lllT4_llli: ; @_ZL24rocblas_symm_hemm_kernelILb0ELb1ELi32EdPKPKdPKPdEvbiiT2_T3_lllS8_lllT4_llli
; %bb.0:
	s_load_dwordx8 s[12:19], s[4:5], 0x10
	s_waitcnt lgkmcnt(0)
	v_cmp_eq_f64_e64 s0, s[12:13], 0
	s_and_b32 vcc_lo, exec_lo, s0
	s_cbranch_vccnz .LBB43_13
; %bb.1:
	s_load_dwordx4 s[20:23], s[4:5], 0x0
	s_waitcnt lgkmcnt(0)
	s_add_i32 s0, s22, -1
	s_ashr_i32 s1, s0, 31
	s_lshr_b32 s1, s1, 27
	s_add_i32 s0, s0, s1
	s_ashr_i32 s23, s0, 5
	s_cmp_gt_i32 s7, s23
	s_cbranch_scc1 .LBB43_13
; %bb.2:
	s_mov_b32 s9, 0
	v_lshl_add_u32 v2, s6, 5, v0
	s_lshl_b64 s[26:27], s[8:9], 3
	v_lshlrev_b32_e32 v4, 3, v1
	s_add_u32 s0, s14, s26
	s_addc_u32 s1, s15, s27
	s_lshl_b64 s[28:29], s[16:17], 3
	s_load_dwordx2 s[24:25], s[0:1], 0x0
	s_clause 0x3
	s_load_dwordx4 s[0:3], s[4:5], 0x38
	s_load_dwordx4 s[8:11], s[4:5], 0x58
	s_load_dwordx2 s[14:15], s[4:5], 0x48
	s_load_dwordx2 s[16:17], s[4:5], 0x68
	v_ashrrev_i32_e32 v3, 31, v2
	s_load_dword s4, s[4:5], 0x84
	v_lshlrev_b32_e32 v9, 8, v0
	v_or_b32_e32 v10, 0x2000, v4
	v_add_nc_u32_e32 v11, v9, v4
	v_add_nc_u32_e32 v12, v10, v9
	;; [unrolled: 1-line block ×5, first 2 shown]
	s_waitcnt lgkmcnt(0)
	s_add_u32 s24, s24, s28
	s_addc_u32 s25, s25, s29
	s_add_u32 s0, s0, s26
	s_addc_u32 s1, s1, s27
	;; [unrolled: 2-line block ×3, first 2 shown]
	s_load_dwordx2 s[26:27], s[0:1], 0x0
	s_load_dwordx2 s[8:9], s[8:9], 0x0
	s_bitcmp1_b32 s20, 0
	v_cmp_gt_i32_e64 s0, s21, v2
	v_lshlrev_b64 v[2:3], 3, v[2:3]
	s_cselect_b32 s1, -1, 0
	s_lshl_b64 s[10:11], s[10:11], 3
	s_waitcnt lgkmcnt(0)
	s_add_u32 s5, s8, s10
	s_addc_u32 s6, s9, s11
	s_lshl_b64 s[2:3], s[2:3], 3
	v_add_co_u32 v15, vcc_lo, s5, v2
	s_add_u32 s2, s26, s2
	v_add_co_ci_u32_e64 v16, null, s6, v3, vcc_lo
	s_addc_u32 s3, s27, s3
	v_add_co_u32 v17, vcc_lo, s2, v2
	v_add_co_ci_u32_e64 v18, null, s3, v3, vcc_lo
	s_cmp_gt_i32 s22, 0
	s_cselect_b32 s3, -1, 0
	s_branch .LBB43_4
.LBB43_3:                               ;   in Loop: Header=BB43_4 Depth=1
	s_add_i32 s7, s7, s4
	s_cmp_gt_i32 s7, s23
	s_cbranch_scc1 .LBB43_13
.LBB43_4:                               ; =>This Loop Header: Depth=1
                                        ;     Child Loop BB43_7 Depth 2
	s_andn2_b32 vcc_lo, exec_lo, s3
	s_cbranch_vccnz .LBB43_3
; %bb.5:                                ;   in Loop: Header=BB43_4 Depth=1
	v_lshl_add_u32 v20, s7, 5, v1
	s_mov_b32 s5, 0
	v_ashrrev_i32_e32 v4, 31, v20
	v_mul_lo_u32 v5, s17, v20
	v_mad_u64_u32 v[2:3], null, s16, v20, 0
	v_cmp_gt_i32_e32 vcc_lo, s22, v20
	v_mul_lo_u32 v4, s16, v4
	v_add3_u32 v3, v3, v4, v5
	v_lshlrev_b64 v[2:3], 3, v[2:3]
	v_add_co_u32 v2, s2, v15, v2
	v_add_co_ci_u32_e64 v3, null, v16, v3, s2
	s_and_b32 s2, s0, vcc_lo
	s_branch .LBB43_7
.LBB43_6:                               ;   in Loop: Header=BB43_7 Depth=2
	s_or_b32 exec_lo, exec_lo, s6
	s_add_i32 s5, s5, 32
	s_waitcnt lgkmcnt(0)
	s_waitcnt_vscnt null, 0x0
	s_cmp_ge_i32 s5, s22
	s_barrier
	buffer_gl0_inv
	s_cbranch_scc1 .LBB43_3
.LBB43_7:                               ;   Parent Loop BB43_4 Depth=1
                                        ; =>  This Inner Loop Header: Depth=2
	v_add_nc_u32_e32 v6, s5, v1
	v_mov_b32_e32 v4, 0
	v_mov_b32_e32 v7, 0
	;; [unrolled: 1-line block ×4, first 2 shown]
	v_cmp_gt_i32_e32 vcc_lo, s22, v6
	s_and_b32 s8, s0, vcc_lo
	s_and_saveexec_b32 s6, s8
	s_cbranch_execz .LBB43_9
; %bb.8:                                ;   in Loop: Header=BB43_7 Depth=2
	v_ashrrev_i32_e32 v8, 31, v6
	v_mul_lo_u32 v21, s15, v6
	v_mad_u64_u32 v[6:7], null, s14, v6, 0
	v_mul_lo_u32 v8, s14, v8
	v_add3_u32 v7, v7, v8, v21
	v_lshlrev_b64 v[6:7], 3, v[6:7]
	v_add_co_u32 v6, vcc_lo, v17, v6
	v_add_co_ci_u32_e64 v7, null, v18, v7, vcc_lo
	flat_load_dwordx2 v[7:8], v[6:7]
.LBB43_9:                               ;   in Loop: Header=BB43_7 Depth=2
	s_or_b32 exec_lo, exec_lo, s6
	v_add_nc_u32_e32 v21, s5, v0
	s_mov_b32 s6, exec_lo
	s_waitcnt vmcnt(0) lgkmcnt(0)
	ds_write_b64 v11, v[7:8]
	v_cndmask_b32_e64 v6, v20, v21, s1
	v_cndmask_b32_e64 v22, v21, v20, s1
	v_cmp_gt_i32_e32 vcc_lo, v6, v22
	v_cndmask_b32_e32 v6, v21, v20, vcc_lo
	v_cndmask_b32_e32 v21, v20, v21, vcc_lo
	v_max_i32_e32 v22, v6, v21
	v_cmpx_gt_i32_e64 s22, v22
	s_cbranch_execz .LBB43_11
; %bb.10:                               ;   in Loop: Header=BB43_7 Depth=2
	v_ashrrev_i32_e32 v7, 31, v21
	v_mul_lo_u32 v8, s19, v21
	v_mad_u64_u32 v[4:5], null, s18, v21, 0
	v_mul_lo_u32 v7, s18, v7
	v_add3_u32 v5, v5, v7, v8
	v_ashrrev_i32_e32 v7, 31, v6
	v_lshlrev_b64 v[4:5], 3, v[4:5]
	v_lshlrev_b64 v[6:7], 3, v[6:7]
	v_add_co_u32 v4, vcc_lo, s24, v4
	v_add_co_ci_u32_e64 v5, null, s25, v5, vcc_lo
	v_add_co_u32 v4, vcc_lo, v4, v6
	v_add_co_ci_u32_e64 v5, null, v5, v7, vcc_lo
	flat_load_dwordx2 v[4:5], v[4:5]
.LBB43_11:                              ;   in Loop: Header=BB43_7 Depth=2
	s_or_b32 exec_lo, exec_lo, s6
	s_waitcnt vmcnt(0) lgkmcnt(0)
	ds_write_b64 v12, v[4:5]
	s_waitcnt lgkmcnt(0)
	s_barrier
	buffer_gl0_inv
	s_and_saveexec_b32 s6, s2
	s_cbranch_execz .LBB43_6
; %bb.12:                               ;   in Loop: Header=BB43_7 Depth=2
	ds_read2_b64 v[4:7], v10 offset1:32
	ds_read_b128 v[21:24], v9
	ds_read_b128 v[25:28], v9 offset:16
	s_waitcnt lgkmcnt(1)
	v_fma_f64 v[4:5], v[21:22], v[4:5], 0
	v_fma_f64 v[21:22], v[23:24], v[6:7], v[4:5]
	ds_read2_b64 v[4:7], v10 offset0:64 offset1:96
	s_waitcnt lgkmcnt(0)
	v_fma_f64 v[4:5], v[25:26], v[4:5], v[21:22]
	v_fma_f64 v[29:30], v[27:28], v[6:7], v[4:5]
	ds_read2_b64 v[4:7], v10 offset0:128 offset1:160
	ds_read_b128 v[21:24], v9 offset:32
	ds_read_b128 v[25:28], v9 offset:48
	s_waitcnt lgkmcnt(1)
	v_fma_f64 v[4:5], v[21:22], v[4:5], v[29:30]
	v_fma_f64 v[21:22], v[23:24], v[6:7], v[4:5]
	ds_read2_b64 v[4:7], v10 offset0:192 offset1:224
	s_waitcnt lgkmcnt(0)
	v_fma_f64 v[4:5], v[25:26], v[4:5], v[21:22]
	v_fma_f64 v[29:30], v[27:28], v[6:7], v[4:5]
	ds_read2_b64 v[4:7], v13 offset1:32
	ds_read_b128 v[21:24], v9 offset:64
	ds_read_b128 v[25:28], v9 offset:80
	s_waitcnt lgkmcnt(1)
	v_fma_f64 v[4:5], v[21:22], v[4:5], v[29:30]
	v_fma_f64 v[21:22], v[23:24], v[6:7], v[4:5]
	ds_read2_b64 v[4:7], v13 offset0:64 offset1:96
	s_waitcnt lgkmcnt(0)
	v_fma_f64 v[4:5], v[25:26], v[4:5], v[21:22]
	v_fma_f64 v[29:30], v[27:28], v[6:7], v[4:5]
	ds_read2_b64 v[4:7], v13 offset0:128 offset1:160
	ds_read_b128 v[21:24], v9 offset:96
	ds_read_b128 v[25:28], v9 offset:112
	s_waitcnt lgkmcnt(1)
	v_fma_f64 v[4:5], v[21:22], v[4:5], v[29:30]
	v_fma_f64 v[21:22], v[23:24], v[6:7], v[4:5]
	ds_read2_b64 v[4:7], v13 offset0:192 offset1:224
	s_waitcnt lgkmcnt(0)
	v_fma_f64 v[4:5], v[25:26], v[4:5], v[21:22]
	v_fma_f64 v[29:30], v[27:28], v[6:7], v[4:5]
	ds_read2_b64 v[4:7], v14 offset1:32
	ds_read_b128 v[21:24], v9 offset:128
	ds_read_b128 v[25:28], v9 offset:144
	s_waitcnt lgkmcnt(1)
	v_fma_f64 v[4:5], v[21:22], v[4:5], v[29:30]
	flat_load_dwordx2 v[29:30], v[2:3]
	v_fma_f64 v[21:22], v[23:24], v[6:7], v[4:5]
	ds_read2_b64 v[4:7], v14 offset0:64 offset1:96
	s_waitcnt lgkmcnt(0)
	v_fma_f64 v[4:5], v[25:26], v[4:5], v[21:22]
	v_fma_f64 v[31:32], v[27:28], v[6:7], v[4:5]
	ds_read2_b64 v[4:7], v14 offset0:128 offset1:160
	ds_read_b128 v[21:24], v9 offset:160
	ds_read_b128 v[25:28], v9 offset:176
	s_waitcnt lgkmcnt(1)
	v_fma_f64 v[4:5], v[21:22], v[4:5], v[31:32]
	v_fma_f64 v[21:22], v[23:24], v[6:7], v[4:5]
	ds_read2_b64 v[4:7], v14 offset0:192 offset1:224
	s_waitcnt lgkmcnt(0)
	v_fma_f64 v[4:5], v[25:26], v[4:5], v[21:22]
	v_fma_f64 v[31:32], v[27:28], v[6:7], v[4:5]
	ds_read2_b64 v[4:7], v19 offset1:32
	ds_read_b128 v[21:24], v9 offset:192
	ds_read_b128 v[25:28], v9 offset:208
	s_waitcnt lgkmcnt(1)
	v_fma_f64 v[4:5], v[21:22], v[4:5], v[31:32]
	v_fma_f64 v[21:22], v[23:24], v[6:7], v[4:5]
	ds_read2_b64 v[4:7], v19 offset0:64 offset1:96
	s_waitcnt lgkmcnt(0)
	v_fma_f64 v[4:5], v[25:26], v[4:5], v[21:22]
	v_fma_f64 v[31:32], v[27:28], v[6:7], v[4:5]
	ds_read2_b64 v[4:7], v19 offset0:128 offset1:160
	ds_read_b128 v[21:24], v9 offset:224
	ds_read_b128 v[25:28], v9 offset:240
	s_waitcnt lgkmcnt(1)
	v_fma_f64 v[4:5], v[21:22], v[4:5], v[31:32]
	v_fma_f64 v[21:22], v[23:24], v[6:7], v[4:5]
	ds_read2_b64 v[4:7], v19 offset0:192 offset1:224
	s_waitcnt lgkmcnt(0)
	v_fma_f64 v[4:5], v[25:26], v[4:5], v[21:22]
	v_fma_f64 v[4:5], v[27:28], v[6:7], v[4:5]
	s_waitcnt vmcnt(0)
	v_fma_f64 v[4:5], s[12:13], v[4:5], v[29:30]
	flat_store_dwordx2 v[2:3], v[4:5]
	s_branch .LBB43_6
.LBB43_13:
	s_endpgm
	.section	.rodata,"a",@progbits
	.p2align	6, 0x0
	.amdhsa_kernel _ZL24rocblas_symm_hemm_kernelILb0ELb1ELi32EdPKPKdPKPdEvbiiT2_T3_lllS8_lllT4_llli
		.amdhsa_group_segment_fixed_size 16384
		.amdhsa_private_segment_fixed_size 0
		.amdhsa_kernarg_size 384
		.amdhsa_user_sgpr_count 6
		.amdhsa_user_sgpr_private_segment_buffer 1
		.amdhsa_user_sgpr_dispatch_ptr 0
		.amdhsa_user_sgpr_queue_ptr 0
		.amdhsa_user_sgpr_kernarg_segment_ptr 1
		.amdhsa_user_sgpr_dispatch_id 0
		.amdhsa_user_sgpr_flat_scratch_init 0
		.amdhsa_user_sgpr_private_segment_size 0
		.amdhsa_wavefront_size32 1
		.amdhsa_uses_dynamic_stack 0
		.amdhsa_system_sgpr_private_segment_wavefront_offset 0
		.amdhsa_system_sgpr_workgroup_id_x 1
		.amdhsa_system_sgpr_workgroup_id_y 1
		.amdhsa_system_sgpr_workgroup_id_z 1
		.amdhsa_system_sgpr_workgroup_info 0
		.amdhsa_system_vgpr_workitem_id 1
		.amdhsa_next_free_vgpr 33
		.amdhsa_next_free_sgpr 30
		.amdhsa_reserve_vcc 1
		.amdhsa_reserve_flat_scratch 0
		.amdhsa_float_round_mode_32 0
		.amdhsa_float_round_mode_16_64 0
		.amdhsa_float_denorm_mode_32 3
		.amdhsa_float_denorm_mode_16_64 3
		.amdhsa_dx10_clamp 1
		.amdhsa_ieee_mode 1
		.amdhsa_fp16_overflow 0
		.amdhsa_workgroup_processor_mode 1
		.amdhsa_memory_ordered 1
		.amdhsa_forward_progress 1
		.amdhsa_shared_vgpr_count 0
		.amdhsa_exception_fp_ieee_invalid_op 0
		.amdhsa_exception_fp_denorm_src 0
		.amdhsa_exception_fp_ieee_div_zero 0
		.amdhsa_exception_fp_ieee_overflow 0
		.amdhsa_exception_fp_ieee_underflow 0
		.amdhsa_exception_fp_ieee_inexact 0
		.amdhsa_exception_int_div_zero 0
	.end_amdhsa_kernel
	.section	.text._ZL24rocblas_symm_hemm_kernelILb0ELb1ELi32EdPKPKdPKPdEvbiiT2_T3_lllS8_lllT4_llli,"axG",@progbits,_ZL24rocblas_symm_hemm_kernelILb0ELb1ELi32EdPKPKdPKPdEvbiiT2_T3_lllS8_lllT4_llli,comdat
.Lfunc_end43:
	.size	_ZL24rocblas_symm_hemm_kernelILb0ELb1ELi32EdPKPKdPKPdEvbiiT2_T3_lllS8_lllT4_llli, .Lfunc_end43-_ZL24rocblas_symm_hemm_kernelILb0ELb1ELi32EdPKPKdPKPdEvbiiT2_T3_lllS8_lllT4_llli
                                        ; -- End function
	.set _ZL24rocblas_symm_hemm_kernelILb0ELb1ELi32EdPKPKdPKPdEvbiiT2_T3_lllS8_lllT4_llli.num_vgpr, 33
	.set _ZL24rocblas_symm_hemm_kernelILb0ELb1ELi32EdPKPKdPKPdEvbiiT2_T3_lllS8_lllT4_llli.num_agpr, 0
	.set _ZL24rocblas_symm_hemm_kernelILb0ELb1ELi32EdPKPKdPKPdEvbiiT2_T3_lllS8_lllT4_llli.numbered_sgpr, 30
	.set _ZL24rocblas_symm_hemm_kernelILb0ELb1ELi32EdPKPKdPKPdEvbiiT2_T3_lllS8_lllT4_llli.num_named_barrier, 0
	.set _ZL24rocblas_symm_hemm_kernelILb0ELb1ELi32EdPKPKdPKPdEvbiiT2_T3_lllS8_lllT4_llli.private_seg_size, 0
	.set _ZL24rocblas_symm_hemm_kernelILb0ELb1ELi32EdPKPKdPKPdEvbiiT2_T3_lllS8_lllT4_llli.uses_vcc, 1
	.set _ZL24rocblas_symm_hemm_kernelILb0ELb1ELi32EdPKPKdPKPdEvbiiT2_T3_lllS8_lllT4_llli.uses_flat_scratch, 0
	.set _ZL24rocblas_symm_hemm_kernelILb0ELb1ELi32EdPKPKdPKPdEvbiiT2_T3_lllS8_lllT4_llli.has_dyn_sized_stack, 0
	.set _ZL24rocblas_symm_hemm_kernelILb0ELb1ELi32EdPKPKdPKPdEvbiiT2_T3_lllS8_lllT4_llli.has_recursion, 0
	.set _ZL24rocblas_symm_hemm_kernelILb0ELb1ELi32EdPKPKdPKPdEvbiiT2_T3_lllS8_lllT4_llli.has_indirect_call, 0
	.section	.AMDGPU.csdata,"",@progbits
; Kernel info:
; codeLenInByte = 1400
; TotalNumSgprs: 32
; NumVgprs: 33
; ScratchSize: 0
; MemoryBound: 0
; FloatMode: 240
; IeeeMode: 1
; LDSByteSize: 16384 bytes/workgroup (compile time only)
; SGPRBlocks: 0
; VGPRBlocks: 4
; NumSGPRsForWavesPerEU: 32
; NumVGPRsForWavesPerEU: 33
; Occupancy: 16
; WaveLimiterHint : 1
; COMPUTE_PGM_RSRC2:SCRATCH_EN: 0
; COMPUTE_PGM_RSRC2:USER_SGPR: 6
; COMPUTE_PGM_RSRC2:TRAP_HANDLER: 0
; COMPUTE_PGM_RSRC2:TGID_X_EN: 1
; COMPUTE_PGM_RSRC2:TGID_Y_EN: 1
; COMPUTE_PGM_RSRC2:TGID_Z_EN: 1
; COMPUTE_PGM_RSRC2:TIDIG_COMP_CNT: 1
	.section	.text._ZL25rocblas_symm_scale_kernelILi128ELi8EPK19rocblas_complex_numIfEPKPS1_EviiT1_T2_llli,"axG",@progbits,_ZL25rocblas_symm_scale_kernelILi128ELi8EPK19rocblas_complex_numIfEPKPS1_EviiT1_T2_llli,comdat
	.globl	_ZL25rocblas_symm_scale_kernelILi128ELi8EPK19rocblas_complex_numIfEPKPS1_EviiT1_T2_llli ; -- Begin function _ZL25rocblas_symm_scale_kernelILi128ELi8EPK19rocblas_complex_numIfEPKPS1_EviiT1_T2_llli
	.p2align	8
	.type	_ZL25rocblas_symm_scale_kernelILi128ELi8EPK19rocblas_complex_numIfEPKPS1_EviiT1_T2_llli,@function
_ZL25rocblas_symm_scale_kernelILi128ELi8EPK19rocblas_complex_numIfEPKPS1_EviiT1_T2_llli: ; @_ZL25rocblas_symm_scale_kernelILi128ELi8EPK19rocblas_complex_numIfEPKPS1_EviiT1_T2_llli
; %bb.0:
	s_load_dwordx8 s[12:19], s[4:5], 0x8
	s_waitcnt lgkmcnt(0)
	s_load_dwordx2 s[2:3], s[12:13], 0x0
	s_waitcnt lgkmcnt(0)
	v_cmp_eq_f32_e64 s0, s2, 1.0
	v_cmp_eq_f32_e64 s1, s3, 0
	s_and_b32 s0, s0, s1
	s_and_b32 vcc_lo, exec_lo, s0
	s_cbranch_vccnz .LBB44_6
; %bb.1:
	s_load_dwordx2 s[0:1], s[4:5], 0x0
	v_lshl_add_u32 v1, s7, 3, v1
	v_mov_b32_e32 v2, 0
	v_lshl_add_u32 v3, s6, 7, v0
	s_waitcnt lgkmcnt(0)
	s_ashr_i32 s7, s1, 31
	s_mov_b32 s6, s1
	v_cmp_gt_u32_e64 s0, s0, v3
	v_cmp_gt_i64_e32 vcc_lo, s[6:7], v[1:2]
	s_and_b32 s0, s0, vcc_lo
	s_and_saveexec_b32 s1, s0
	s_cbranch_execz .LBB44_6
; %bb.2:
	v_mad_u64_u32 v[5:6], null, s18, v1, 0
	s_load_dword s10, s[4:5], 0x3c
	s_mov_b32 s9, 0
	v_mov_b32_e32 v4, v2
	s_lshl_b64 s[0:1], s[8:9], 3
	s_add_u32 s0, s14, s0
	v_mov_b32_e32 v0, v6
	s_addc_u32 s1, s15, s1
	s_or_b32 s8, s2, s3
	s_load_dwordx2 s[4:5], s[0:1], 0x0
	s_bitset0_b32 s8, 31
	v_mad_u64_u32 v[6:7], null, s19, v1, v[0:1]
	s_cmp_lg_u32 s8, 0
	v_lshlrev_b64 v[3:4], 3, v[3:4]
	s_cselect_b32 s1, -1, 0
	v_lshlrev_b64 v[5:6], 3, v[5:6]
	s_waitcnt lgkmcnt(0)
	s_lshl_b32 s8, s10, 3
	s_lshl_b64 s[10:11], s[16:17], 3
	s_mul_i32 s0, s19, s8
	v_add_co_u32 v0, vcc_lo, v5, s10
	v_add_co_ci_u32_e64 v5, null, s11, v6, vcc_lo
	s_mul_hi_u32 s10, s18, s8
	v_add_co_u32 v0, vcc_lo, v0, v3
	v_add_co_ci_u32_e64 v4, null, v5, v4, vcc_lo
	s_add_i32 s11, s10, s0
	v_add_co_u32 v3, vcc_lo, s4, v0
	v_add_co_ci_u32_e64 v4, null, s5, v4, vcc_lo
	s_mul_i32 s10, s18, s8
	s_lshl_b64 s[4:5], s[10:11], 3
	s_inst_prefetch 0x1
	s_branch .LBB44_4
	.p2align	6
.LBB44_3:                               ;   in Loop: Header=BB44_4 Depth=1
	v_add_co_u32 v1, vcc_lo, v1, s8
	v_add_co_ci_u32_e64 v2, null, 0, v2, vcc_lo
	flat_store_dwordx2 v[3:4], v[5:6]
	v_add_co_u32 v3, s0, v3, s4
	v_cmp_le_i64_e32 vcc_lo, s[6:7], v[1:2]
	v_add_co_ci_u32_e64 v4, null, s5, v4, s0
	s_or_b32 s9, vcc_lo, s9
	s_andn2_b32 exec_lo, exec_lo, s9
	s_cbranch_execz .LBB44_6
.LBB44_4:                               ; =>This Inner Loop Header: Depth=1
	v_mov_b32_e32 v6, 0
	v_mov_b32_e32 v5, 0
	s_andn2_b32 vcc_lo, exec_lo, s1
	s_cbranch_vccnz .LBB44_3
; %bb.5:                                ;   in Loop: Header=BB44_4 Depth=1
	flat_load_dwordx2 v[7:8], v[3:4]
	s_waitcnt vmcnt(0) lgkmcnt(0)
	v_mul_f32_e32 v0, s3, v8
	v_mul_f32_e32 v6, s2, v8
	v_fma_f32 v5, v7, s2, -v0
	v_fmac_f32_e32 v6, s3, v7
	s_branch .LBB44_3
.LBB44_6:
	s_inst_prefetch 0x2
	s_endpgm
	.section	.rodata,"a",@progbits
	.p2align	6, 0x0
	.amdhsa_kernel _ZL25rocblas_symm_scale_kernelILi128ELi8EPK19rocblas_complex_numIfEPKPS1_EviiT1_T2_llli
		.amdhsa_group_segment_fixed_size 0
		.amdhsa_private_segment_fixed_size 0
		.amdhsa_kernarg_size 312
		.amdhsa_user_sgpr_count 6
		.amdhsa_user_sgpr_private_segment_buffer 1
		.amdhsa_user_sgpr_dispatch_ptr 0
		.amdhsa_user_sgpr_queue_ptr 0
		.amdhsa_user_sgpr_kernarg_segment_ptr 1
		.amdhsa_user_sgpr_dispatch_id 0
		.amdhsa_user_sgpr_flat_scratch_init 0
		.amdhsa_user_sgpr_private_segment_size 0
		.amdhsa_wavefront_size32 1
		.amdhsa_uses_dynamic_stack 0
		.amdhsa_system_sgpr_private_segment_wavefront_offset 0
		.amdhsa_system_sgpr_workgroup_id_x 1
		.amdhsa_system_sgpr_workgroup_id_y 1
		.amdhsa_system_sgpr_workgroup_id_z 1
		.amdhsa_system_sgpr_workgroup_info 0
		.amdhsa_system_vgpr_workitem_id 1
		.amdhsa_next_free_vgpr 9
		.amdhsa_next_free_sgpr 20
		.amdhsa_reserve_vcc 1
		.amdhsa_reserve_flat_scratch 0
		.amdhsa_float_round_mode_32 0
		.amdhsa_float_round_mode_16_64 0
		.amdhsa_float_denorm_mode_32 3
		.amdhsa_float_denorm_mode_16_64 3
		.amdhsa_dx10_clamp 1
		.amdhsa_ieee_mode 1
		.amdhsa_fp16_overflow 0
		.amdhsa_workgroup_processor_mode 1
		.amdhsa_memory_ordered 1
		.amdhsa_forward_progress 1
		.amdhsa_shared_vgpr_count 0
		.amdhsa_exception_fp_ieee_invalid_op 0
		.amdhsa_exception_fp_denorm_src 0
		.amdhsa_exception_fp_ieee_div_zero 0
		.amdhsa_exception_fp_ieee_overflow 0
		.amdhsa_exception_fp_ieee_underflow 0
		.amdhsa_exception_fp_ieee_inexact 0
		.amdhsa_exception_int_div_zero 0
	.end_amdhsa_kernel
	.section	.text._ZL25rocblas_symm_scale_kernelILi128ELi8EPK19rocblas_complex_numIfEPKPS1_EviiT1_T2_llli,"axG",@progbits,_ZL25rocblas_symm_scale_kernelILi128ELi8EPK19rocblas_complex_numIfEPKPS1_EviiT1_T2_llli,comdat
.Lfunc_end44:
	.size	_ZL25rocblas_symm_scale_kernelILi128ELi8EPK19rocblas_complex_numIfEPKPS1_EviiT1_T2_llli, .Lfunc_end44-_ZL25rocblas_symm_scale_kernelILi128ELi8EPK19rocblas_complex_numIfEPKPS1_EviiT1_T2_llli
                                        ; -- End function
	.set _ZL25rocblas_symm_scale_kernelILi128ELi8EPK19rocblas_complex_numIfEPKPS1_EviiT1_T2_llli.num_vgpr, 9
	.set _ZL25rocblas_symm_scale_kernelILi128ELi8EPK19rocblas_complex_numIfEPKPS1_EviiT1_T2_llli.num_agpr, 0
	.set _ZL25rocblas_symm_scale_kernelILi128ELi8EPK19rocblas_complex_numIfEPKPS1_EviiT1_T2_llli.numbered_sgpr, 20
	.set _ZL25rocblas_symm_scale_kernelILi128ELi8EPK19rocblas_complex_numIfEPKPS1_EviiT1_T2_llli.num_named_barrier, 0
	.set _ZL25rocblas_symm_scale_kernelILi128ELi8EPK19rocblas_complex_numIfEPKPS1_EviiT1_T2_llli.private_seg_size, 0
	.set _ZL25rocblas_symm_scale_kernelILi128ELi8EPK19rocblas_complex_numIfEPKPS1_EviiT1_T2_llli.uses_vcc, 1
	.set _ZL25rocblas_symm_scale_kernelILi128ELi8EPK19rocblas_complex_numIfEPKPS1_EviiT1_T2_llli.uses_flat_scratch, 0
	.set _ZL25rocblas_symm_scale_kernelILi128ELi8EPK19rocblas_complex_numIfEPKPS1_EviiT1_T2_llli.has_dyn_sized_stack, 0
	.set _ZL25rocblas_symm_scale_kernelILi128ELi8EPK19rocblas_complex_numIfEPKPS1_EviiT1_T2_llli.has_recursion, 0
	.set _ZL25rocblas_symm_scale_kernelILi128ELi8EPK19rocblas_complex_numIfEPKPS1_EviiT1_T2_llli.has_indirect_call, 0
	.section	.AMDGPU.csdata,"",@progbits
; Kernel info:
; codeLenInByte = 436
; TotalNumSgprs: 22
; NumVgprs: 9
; ScratchSize: 0
; MemoryBound: 0
; FloatMode: 240
; IeeeMode: 1
; LDSByteSize: 0 bytes/workgroup (compile time only)
; SGPRBlocks: 0
; VGPRBlocks: 1
; NumSGPRsForWavesPerEU: 22
; NumVGPRsForWavesPerEU: 9
; Occupancy: 16
; WaveLimiterHint : 0
; COMPUTE_PGM_RSRC2:SCRATCH_EN: 0
; COMPUTE_PGM_RSRC2:USER_SGPR: 6
; COMPUTE_PGM_RSRC2:TRAP_HANDLER: 0
; COMPUTE_PGM_RSRC2:TGID_X_EN: 1
; COMPUTE_PGM_RSRC2:TGID_Y_EN: 1
; COMPUTE_PGM_RSRC2:TGID_Z_EN: 1
; COMPUTE_PGM_RSRC2:TIDIG_COMP_CNT: 1
	.section	.text._ZL24rocblas_symm_hemm_kernelILb0ELb0ELi32EPK19rocblas_complex_numIfEPKS3_PKPS1_EvbiiT2_T3_lllSA_lllT4_llli,"axG",@progbits,_ZL24rocblas_symm_hemm_kernelILb0ELb0ELi32EPK19rocblas_complex_numIfEPKS3_PKPS1_EvbiiT2_T3_lllSA_lllT4_llli,comdat
	.globl	_ZL24rocblas_symm_hemm_kernelILb0ELb0ELi32EPK19rocblas_complex_numIfEPKS3_PKPS1_EvbiiT2_T3_lllSA_lllT4_llli ; -- Begin function _ZL24rocblas_symm_hemm_kernelILb0ELb0ELi32EPK19rocblas_complex_numIfEPKS3_PKPS1_EvbiiT2_T3_lllSA_lllT4_llli
	.p2align	8
	.type	_ZL24rocblas_symm_hemm_kernelILb0ELb0ELi32EPK19rocblas_complex_numIfEPKS3_PKPS1_EvbiiT2_T3_lllSA_lllT4_llli,@function
_ZL24rocblas_symm_hemm_kernelILb0ELb0ELi32EPK19rocblas_complex_numIfEPKS3_PKPS1_EvbiiT2_T3_lllSA_lllT4_llli: ; @_ZL24rocblas_symm_hemm_kernelILb0ELb0ELi32EPK19rocblas_complex_numIfEPKS3_PKPS1_EvbiiT2_T3_lllSA_lllT4_llli
; %bb.0:
	s_load_dwordx8 s[12:19], s[4:5], 0x10
	s_waitcnt lgkmcnt(0)
	s_load_dwordx2 s[10:11], s[12:13], 0x0
	s_waitcnt lgkmcnt(0)
	v_cmp_eq_f32_e64 s0, s10, 0
	v_cmp_eq_f32_e64 s1, s11, 0
	s_and_b32 s0, s0, s1
	s_and_b32 vcc_lo, exec_lo, s0
	s_cbranch_vccnz .LBB45_13
; %bb.1:
	s_load_dwordx4 s[20:23], s[4:5], 0x0
	s_waitcnt lgkmcnt(0)
	s_add_i32 s0, s22, -1
	s_ashr_i32 s1, s0, 31
	s_lshr_b32 s1, s1, 27
	s_add_i32 s0, s0, s1
	s_ashr_i32 s23, s0, 5
	s_cmp_gt_i32 s7, s23
	s_cbranch_scc1 .LBB45_13
; %bb.2:
	s_mov_b32 s9, 0
	v_lshl_add_u32 v2, s6, 5, v0
	s_lshl_b64 s[28:29], s[8:9], 3
	s_clause 0x1
	s_load_dwordx2 s[8:9], s[4:5], 0x48
	s_load_dwordx2 s[12:13], s[4:5], 0x68
	s_add_u32 s0, s14, s28
	s_addc_u32 s1, s15, s29
	s_load_dwordx2 s[0:1], s[0:1], 0x0
	s_load_dwordx4 s[24:27], s[4:5], 0x38
	s_lshl_b64 s[2:3], s[16:17], 3
	v_lshlrev_b32_e32 v4, 3, v1
	v_lshlrev_b32_e32 v11, 8, v0
	v_ashrrev_i32_e32 v3, 31, v2
	v_or_b32_e32 v12, 0x2000, v4
	v_add_nc_u32_e32 v13, v11, v4
	v_lshlrev_b64 v[3:4], 3, v[2:3]
	v_add_nc_u32_e32 v14, v12, v11
	v_add_nc_u32_e32 v15, 0x800, v12
	;; [unrolled: 1-line block ×4, first 2 shown]
	s_waitcnt lgkmcnt(0)
	s_add_u32 s14, s0, s2
	s_addc_u32 s15, s1, s3
	s_add_u32 s0, s24, s28
	s_addc_u32 s1, s25, s29
	s_load_dwordx2 s[16:17], s[0:1], 0x0
	s_load_dwordx4 s[0:3], s[4:5], 0x58
	s_lshl_b64 s[24:25], s[26:27], 3
	s_load_dword s4, s[4:5], 0x84
	s_waitcnt lgkmcnt(0)
	s_add_u32 s16, s16, s24
	s_addc_u32 s17, s17, s25
	s_add_u32 s0, s0, s28
	s_addc_u32 s1, s1, s29
	s_bitcmp1_b32 s20, 0
	s_load_dwordx2 s[24:25], s[0:1], 0x0
	s_cselect_b32 s1, -1, 0
	s_lshl_b64 s[2:3], s[2:3], 3
	v_cmp_gt_i32_e64 s0, s21, v2
	s_waitcnt lgkmcnt(0)
	s_add_u32 s2, s24, s2
	s_addc_u32 s3, s25, s3
	v_add_co_u32 v17, vcc_lo, s2, v3
	v_add_co_ci_u32_e64 v18, null, s3, v4, vcc_lo
	s_cmp_gt_i32 s21, 0
	s_cselect_b32 s3, -1, 0
	s_branch .LBB45_4
.LBB45_3:                               ;   in Loop: Header=BB45_4 Depth=1
	s_add_i32 s7, s7, s4
	s_cmp_gt_i32 s7, s23
	s_cbranch_scc1 .LBB45_13
.LBB45_4:                               ; =>This Loop Header: Depth=1
                                        ;     Child Loop BB45_7 Depth 2
	s_andn2_b32 vcc_lo, exec_lo, s3
	s_cbranch_vccnz .LBB45_3
; %bb.5:                                ;   in Loop: Header=BB45_4 Depth=1
	v_lshl_add_u32 v7, s7, 5, v1
	s_mov_b32 s6, 0
	v_ashrrev_i32_e32 v8, 31, v7
	v_mul_lo_u32 v9, s9, v7
	v_mad_u64_u32 v[3:4], null, s8, v7, 0
	v_mul_lo_u32 v20, s13, v7
	v_mul_lo_u32 v10, s8, v8
	v_mad_u64_u32 v[5:6], null, s12, v7, 0
	v_mul_lo_u32 v8, s12, v8
	v_cmp_gt_i32_e32 vcc_lo, s22, v7
	v_add3_u32 v4, v4, v10, v9
	s_and_b32 s5, s0, vcc_lo
	v_add3_u32 v6, v6, v8, v20
	v_lshlrev_b64 v[3:4], 3, v[3:4]
	v_lshlrev_b64 v[5:6], 3, v[5:6]
	v_add_co_u32 v20, s2, s16, v3
	v_add_co_ci_u32_e64 v21, null, s17, v4, s2
	v_add_co_u32 v3, s2, v17, v5
	v_add_co_ci_u32_e64 v4, null, v18, v6, s2
	s_branch .LBB45_7
.LBB45_6:                               ;   in Loop: Header=BB45_7 Depth=2
	s_or_b32 exec_lo, exec_lo, s2
	s_add_i32 s6, s6, 32
	s_waitcnt lgkmcnt(0)
	s_waitcnt_vscnt null, 0x0
	s_cmp_ge_i32 s6, s21
	s_barrier
	buffer_gl0_inv
	s_cbranch_scc1 .LBB45_3
.LBB45_7:                               ;   Parent Loop BB45_4 Depth=1
                                        ; =>  This Inner Loop Header: Depth=2
	v_add_nc_u32_e32 v5, s6, v1
	v_cndmask_b32_e64 v6, v5, v2, s1
	v_cndmask_b32_e64 v7, v2, v5, s1
	v_cmp_gt_i32_e64 s2, v6, v7
	v_mov_b32_e32 v7, 0
	v_cndmask_b32_e64 v6, v2, v5, s2
	v_cndmask_b32_e64 v9, v5, v2, s2
	v_mov_b32_e32 v5, 0
	v_max_i32_e32 v8, v6, v9
	v_cmp_gt_i32_e64 s2, s21, v8
	v_mov_b32_e32 v8, 0
	s_and_saveexec_b32 s20, s2
	s_cbranch_execz .LBB45_9
; %bb.8:                                ;   in Loop: Header=BB45_7 Depth=2
	v_ashrrev_i32_e32 v7, 31, v9
	v_mul_lo_u32 v10, s19, v9
	v_mad_u64_u32 v[8:9], null, s18, v9, 0
	v_mul_lo_u32 v7, s18, v7
	v_add3_u32 v9, v9, v7, v10
	v_ashrrev_i32_e32 v7, 31, v6
	v_lshlrev_b64 v[8:9], 3, v[8:9]
	v_lshlrev_b64 v[6:7], 3, v[6:7]
	v_add_co_u32 v8, s2, s14, v8
	v_add_co_ci_u32_e64 v9, null, s15, v9, s2
	v_add_co_u32 v6, s2, v8, v6
	v_add_co_ci_u32_e64 v7, null, v9, v7, s2
	flat_load_dwordx2 v[7:8], v[6:7]
.LBB45_9:                               ;   in Loop: Header=BB45_7 Depth=2
	s_or_b32 exec_lo, exec_lo, s20
	v_add_nc_u32_e32 v9, s6, v0
	v_mov_b32_e32 v6, 0
	s_waitcnt vmcnt(0) lgkmcnt(0)
	ds_write_b64 v13, v[7:8]
	v_cmp_gt_i32_e64 s2, s21, v9
	s_and_b32 s2, s2, vcc_lo
	s_and_saveexec_b32 s20, s2
	s_cbranch_execz .LBB45_11
; %bb.10:                               ;   in Loop: Header=BB45_7 Depth=2
	v_ashrrev_i32_e32 v10, 31, v9
	v_lshlrev_b64 v[5:6], 3, v[9:10]
	v_add_co_u32 v5, s2, v20, v5
	v_add_co_ci_u32_e64 v6, null, v21, v6, s2
	flat_load_dwordx2 v[5:6], v[5:6]
.LBB45_11:                              ;   in Loop: Header=BB45_7 Depth=2
	s_or_b32 exec_lo, exec_lo, s20
	s_waitcnt vmcnt(0) lgkmcnt(0)
	ds_write_b64 v14, v[5:6]
	s_waitcnt lgkmcnt(0)
	s_barrier
	buffer_gl0_inv
	s_and_saveexec_b32 s2, s5
	s_cbranch_execz .LBB45_6
; %bb.12:                               ;   in Loop: Header=BB45_7 Depth=2
	flat_load_dwordx2 v[5:6], v[3:4]
	ds_read2_b64 v[7:10], v12 offset1:32
	ds_read_b128 v[22:25], v11
	ds_read_b128 v[26:29], v11 offset:16
	ds_read2_b64 v[30:33], v12 offset0:64 offset1:96
	ds_read2_b64 v[34:37], v12 offset0:128 offset1:160
	ds_read_b128 v[38:41], v11 offset:32
	ds_read_b128 v[42:45], v11 offset:48
	ds_read2_b64 v[46:49], v12 offset0:192 offset1:224
	ds_read2_b64 v[50:53], v15 offset1:32
	ds_read_b128 v[54:57], v11 offset:64
	ds_read_b128 v[58:61], v11 offset:80
	s_waitcnt lgkmcnt(9)
	v_mul_f32_e32 v62, v8, v23
	v_mul_f32_e32 v63, v7, v23
	;; [unrolled: 1-line block ×3, first 2 shown]
	s_waitcnt lgkmcnt(7)
	v_mul_f32_e32 v66, v30, v27
	v_mul_f32_e32 v23, v10, v25
	v_fma_f32 v62, v7, v22, -v62
	v_fmac_f32_e32 v63, v8, v22
	v_mul_f32_e32 v22, v31, v27
	s_waitcnt lgkmcnt(5)
	v_mul_f32_e32 v27, v35, v39
	v_fmac_f32_e32 v64, v10, v24
	v_mul_f32_e32 v68, v34, v39
	v_fma_f32 v65, v9, v24, -v23
	ds_read2_b64 v[7:10], v15 offset0:64 offset1:96
	v_fma_f32 v72, v34, v38, -v27
	v_add_f32_e32 v34, 0, v63
	v_fmac_f32_e32 v68, v35, v38
	s_waitcnt lgkmcnt(4)
	v_mul_f32_e32 v35, v47, v43
	v_mul_f32_e32 v63, v46, v43
	;; [unrolled: 1-line block ×3, first 2 shown]
	v_add_f32_e32 v38, v34, v64
	v_add_f32_e32 v34, 0, v62
	v_mul_f32_e32 v67, v32, v29
	v_mul_f32_e32 v29, v37, v41
	v_fma_f32 v69, v30, v26, -v22
	v_fmac_f32_e32 v66, v31, v26
	v_fma_f32 v62, v46, v42, -v35
	v_fmac_f32_e32 v63, v47, v42
	v_add_f32_e32 v42, v34, v65
	v_fma_f32 v70, v32, v28, -v23
	v_fmac_f32_e32 v67, v33, v28
	v_mul_f32_e32 v71, v36, v41
	v_fma_f32 v73, v36, v40, -v29
	v_mul_f32_e32 v36, v49, v45
	v_mul_f32_e32 v64, v48, v45
	v_add_f32_e32 v43, v38, v66
	v_add_f32_e32 v42, v42, v69
	ds_read2_b64 v[22:25], v15 offset0:128 offset1:160
	v_fma_f32 v74, v48, v44, -v36
	v_fmac_f32_e32 v64, v49, v44
	s_waitcnt lgkmcnt(3)
	v_mul_f32_e32 v44, v51, v55
	v_mul_f32_e32 v55, v50, v55
	v_add_f32_e32 v43, v43, v67
	v_mul_f32_e32 v45, v53, v57
	v_mul_f32_e32 v57, v52, v57
	v_add_f32_e32 v42, v42, v70
	ds_read_b128 v[26:29], v11 offset:96
	ds_read_b128 v[30:33], v11 offset:112
	v_fmac_f32_e32 v71, v37, v40
	ds_read2_b64 v[34:37], v15 offset0:192 offset1:224
	s_waitcnt lgkmcnt(4)
	v_mul_f32_e32 v65, v8, v59
	v_add_f32_e32 v43, v43, v68
	v_mul_f32_e32 v59, v7, v59
	v_fma_f32 v66, v50, v54, -v44
	v_fmac_f32_e32 v55, v51, v54
	v_fma_f32 v54, v52, v56, -v45
	v_fmac_f32_e32 v57, v53, v56
	v_mul_f32_e32 v50, v10, v61
	v_mul_f32_e32 v56, v9, v61
	v_add_f32_e32 v51, v42, v72
	v_add_f32_e32 v52, v43, v71
	v_fma_f32 v61, v7, v58, -v65
	v_fmac_f32_e32 v59, v8, v58
	v_fma_f32 v58, v9, v60, -v50
	v_fmac_f32_e32 v56, v10, v60
	v_add_f32_e32 v60, v51, v73
	ds_read2_b64 v[38:41], v16 offset1:32
	v_add_f32_e32 v63, v52, v63
	ds_read_b128 v[42:45], v11 offset:128
	ds_read_b128 v[46:49], v11 offset:144
	s_waitcnt lgkmcnt(5)
	v_mul_f32_e32 v65, v23, v27
	v_add_f32_e32 v60, v60, v62
	v_mul_f32_e32 v62, v22, v27
	v_add_f32_e32 v27, v63, v64
	v_mul_f32_e32 v63, v25, v29
	v_mul_f32_e32 v64, v24, v29
	v_add_f32_e32 v29, v60, v74
	ds_read2_b64 v[7:10], v16 offset0:64 offset1:96
	s_waitcnt lgkmcnt(4)
	v_mul_f32_e32 v60, v35, v31
	v_add_f32_e32 v27, v27, v55
	v_mul_f32_e32 v55, v34, v31
	v_add_f32_e32 v66, v29, v66
	ds_read2_b64 v[50:53], v16 offset0:128 offset1:160
	v_fma_f32 v60, v34, v30, -v60
	v_add_f32_e32 v57, v27, v57
	v_fmac_f32_e32 v55, v35, v30
	v_add_f32_e32 v34, v66, v54
	v_fma_f32 v65, v22, v26, -v65
	s_waitcnt lgkmcnt(3)
	v_mul_f32_e32 v69, v39, v43
	v_add_f32_e32 v35, v57, v59
	v_mul_f32_e32 v54, v38, v43
	v_mul_f32_e32 v43, v41, v45
	;; [unrolled: 1-line block ×3, first 2 shown]
	v_add_f32_e32 v45, v34, v61
	v_fmac_f32_e32 v62, v23, v26
	v_add_f32_e32 v56, v35, v56
	v_fma_f32 v63, v24, v28, -v63
	v_fmac_f32_e32 v64, v25, v28
	v_add_f32_e32 v58, v45, v58
	ds_read_b128 v[22:25], v11 offset:160
	ds_read_b128 v[26:29], v11 offset:176
	v_add_f32_e32 v56, v56, v62
	s_waitcnt lgkmcnt(3)
	v_mul_f32_e32 v62, v8, v47
	v_mul_f32_e32 v66, v7, v47
	v_add_f32_e32 v47, v58, v65
	v_mul_f32_e32 v31, v37, v33
	v_mul_f32_e32 v67, v36, v33
	v_add_f32_e32 v56, v56, v64
	v_fma_f32 v62, v7, v46, -v62
	v_fmac_f32_e32 v66, v8, v46
	v_add_f32_e32 v46, v47, v63
	v_fma_f32 v68, v36, v32, -v31
	v_fmac_f32_e32 v67, v37, v32
	v_add_f32_e32 v55, v56, v55
	ds_read2_b64 v[30:33], v16 offset0:192 offset1:224
	v_add_f32_e32 v56, v46, v60
	v_fma_f32 v59, v38, v42, -v69
	v_fmac_f32_e32 v54, v39, v42
	v_fma_f32 v61, v40, v44, -v43
	s_waitcnt lgkmcnt(2)
	v_mul_f32_e32 v60, v51, v23
	v_mul_f32_e32 v63, v50, v23
	v_add_f32_e32 v23, v55, v67
	v_add_f32_e32 v55, v56, v68
	v_fmac_f32_e32 v57, v41, v44
	v_mul_f32_e32 v56, v53, v25
	v_mul_f32_e32 v65, v52, v25
	v_add_f32_e32 v23, v23, v54
	v_add_f32_e32 v25, v55, v59
	v_mul_f32_e32 v58, v10, v49
	v_mul_f32_e32 v64, v9, v49
	ds_read2_b64 v[34:37], v19 offset1:32
	v_add_f32_e32 v67, v23, v57
	v_add_f32_e32 v61, v25, v61
	v_fma_f32 v58, v9, v48, -v58
	v_fmac_f32_e32 v64, v10, v48
	ds_read_b128 v[38:41], v11 offset:192
	ds_read_b128 v[42:45], v11 offset:208
	v_add_f32_e32 v66, v67, v66
	v_add_f32_e32 v61, v61, v62
	v_fma_f32 v60, v50, v22, -v60
	v_fmac_f32_e32 v63, v51, v22
	s_waitcnt lgkmcnt(3)
	v_mul_f32_e32 v67, v31, v27
	v_mul_f32_e32 v27, v30, v27
	;; [unrolled: 1-line block ×3, first 2 shown]
	v_add_f32_e32 v64, v66, v64
	v_mul_f32_e32 v29, v32, v29
	v_add_f32_e32 v58, v61, v58
	ds_read2_b64 v[7:10], v19 offset0:64 offset1:96
	v_fma_f32 v59, v52, v24, -v56
	v_fmac_f32_e32 v65, v53, v24
	v_fma_f32 v30, v30, v26, -v67
	v_fmac_f32_e32 v27, v31, v26
	;; [unrolled: 2-line block ×3, first 2 shown]
	v_add_f32_e32 v32, v64, v63
	v_add_f32_e32 v33, v58, v60
	ds_read2_b64 v[46:49], v19 offset0:128 offset1:160
	s_waitcnt lgkmcnt(3)
	v_mul_f32_e32 v61, v35, v39
	v_mul_f32_e32 v28, v34, v39
	v_add_f32_e32 v32, v32, v65
	v_add_f32_e32 v33, v33, v59
	ds_read_b128 v[22:25], v11 offset:224
	ds_read_b128 v[50:53], v11 offset:240
	ds_read2_b64 v[54:57], v19 offset0:192 offset1:224
	v_mul_f32_e32 v31, v37, v41
	v_mul_f32_e32 v39, v36, v41
	v_add_f32_e32 v27, v32, v27
	v_add_f32_e32 v30, v33, v30
	v_fmac_f32_e32 v28, v35, v38
	v_fma_f32 v32, v34, v38, -v61
	s_waitcnt lgkmcnt(4)
	v_mul_f32_e32 v41, v8, v43
	v_add_f32_e32 v27, v27, v29
	v_add_f32_e32 v26, v30, v26
	v_mul_f32_e32 v43, v7, v43
	v_fma_f32 v30, v36, v40, -v31
	v_fmac_f32_e32 v39, v37, v40
	v_add_f32_e32 v27, v27, v28
	v_add_f32_e32 v26, v26, v32
	v_mul_f32_e32 v58, v10, v45
	v_mul_f32_e32 v45, v9, v45
	v_fma_f32 v7, v7, v42, -v41
	v_fmac_f32_e32 v43, v8, v42
	v_add_f32_e32 v8, v27, v39
	v_add_f32_e32 v26, v26, v30
	s_waitcnt lgkmcnt(2)
	v_mul_f32_e32 v59, v47, v23
	v_mul_f32_e32 v23, v46, v23
	v_fma_f32 v9, v9, v44, -v58
	v_fmac_f32_e32 v45, v10, v44
	v_add_f32_e32 v8, v8, v43
	v_add_f32_e32 v7, v26, v7
	v_mul_f32_e32 v29, v49, v25
	v_mul_f32_e32 v25, v48, v25
	v_fma_f32 v26, v46, v22, -v59
	v_fmac_f32_e32 v23, v47, v22
	v_add_f32_e32 v8, v8, v45
	v_add_f32_e32 v7, v7, v9
	s_waitcnt lgkmcnt(0)
	v_mul_f32_e32 v27, v55, v51
	v_mul_f32_e32 v10, v54, v51
	v_fma_f32 v22, v48, v24, -v29
	v_fmac_f32_e32 v25, v49, v24
	v_add_f32_e32 v8, v8, v23
	v_add_f32_e32 v7, v7, v26
	v_mul_f32_e32 v9, v57, v53
	v_mul_f32_e32 v23, v56, v53
	v_fma_f32 v24, v54, v50, -v27
	v_fmac_f32_e32 v10, v55, v50
	v_add_f32_e32 v8, v8, v25
	v_add_f32_e32 v7, v7, v22
	v_fma_f32 v9, v56, v52, -v9
	v_fmac_f32_e32 v23, v57, v52
	v_add_f32_e32 v8, v8, v10
	v_add_f32_e32 v7, v7, v24
	;; [unrolled: 1-line block ×4, first 2 shown]
	v_mul_f32_e32 v9, s11, v8
	v_mul_f32_e32 v10, s11, v7
	v_fma_f32 v7, s10, v7, -v9
	v_fmac_f32_e32 v10, s10, v8
	s_waitcnt vmcnt(0)
	v_add_f32_e32 v5, v5, v7
	v_add_f32_e32 v6, v6, v10
	flat_store_dwordx2 v[3:4], v[5:6]
	s_branch .LBB45_6
.LBB45_13:
	s_endpgm
	.section	.rodata,"a",@progbits
	.p2align	6, 0x0
	.amdhsa_kernel _ZL24rocblas_symm_hemm_kernelILb0ELb0ELi32EPK19rocblas_complex_numIfEPKS3_PKPS1_EvbiiT2_T3_lllSA_lllT4_llli
		.amdhsa_group_segment_fixed_size 16384
		.amdhsa_private_segment_fixed_size 0
		.amdhsa_kernarg_size 384
		.amdhsa_user_sgpr_count 6
		.amdhsa_user_sgpr_private_segment_buffer 1
		.amdhsa_user_sgpr_dispatch_ptr 0
		.amdhsa_user_sgpr_queue_ptr 0
		.amdhsa_user_sgpr_kernarg_segment_ptr 1
		.amdhsa_user_sgpr_dispatch_id 0
		.amdhsa_user_sgpr_flat_scratch_init 0
		.amdhsa_user_sgpr_private_segment_size 0
		.amdhsa_wavefront_size32 1
		.amdhsa_uses_dynamic_stack 0
		.amdhsa_system_sgpr_private_segment_wavefront_offset 0
		.amdhsa_system_sgpr_workgroup_id_x 1
		.amdhsa_system_sgpr_workgroup_id_y 1
		.amdhsa_system_sgpr_workgroup_id_z 1
		.amdhsa_system_sgpr_workgroup_info 0
		.amdhsa_system_vgpr_workitem_id 1
		.amdhsa_next_free_vgpr 75
		.amdhsa_next_free_sgpr 30
		.amdhsa_reserve_vcc 1
		.amdhsa_reserve_flat_scratch 0
		.amdhsa_float_round_mode_32 0
		.amdhsa_float_round_mode_16_64 0
		.amdhsa_float_denorm_mode_32 3
		.amdhsa_float_denorm_mode_16_64 3
		.amdhsa_dx10_clamp 1
		.amdhsa_ieee_mode 1
		.amdhsa_fp16_overflow 0
		.amdhsa_workgroup_processor_mode 1
		.amdhsa_memory_ordered 1
		.amdhsa_forward_progress 1
		.amdhsa_shared_vgpr_count 0
		.amdhsa_exception_fp_ieee_invalid_op 0
		.amdhsa_exception_fp_denorm_src 0
		.amdhsa_exception_fp_ieee_div_zero 0
		.amdhsa_exception_fp_ieee_overflow 0
		.amdhsa_exception_fp_ieee_underflow 0
		.amdhsa_exception_fp_ieee_inexact 0
		.amdhsa_exception_int_div_zero 0
	.end_amdhsa_kernel
	.section	.text._ZL24rocblas_symm_hemm_kernelILb0ELb0ELi32EPK19rocblas_complex_numIfEPKS3_PKPS1_EvbiiT2_T3_lllSA_lllT4_llli,"axG",@progbits,_ZL24rocblas_symm_hemm_kernelILb0ELb0ELi32EPK19rocblas_complex_numIfEPKS3_PKPS1_EvbiiT2_T3_lllSA_lllT4_llli,comdat
.Lfunc_end45:
	.size	_ZL24rocblas_symm_hemm_kernelILb0ELb0ELi32EPK19rocblas_complex_numIfEPKS3_PKPS1_EvbiiT2_T3_lllSA_lllT4_llli, .Lfunc_end45-_ZL24rocblas_symm_hemm_kernelILb0ELb0ELi32EPK19rocblas_complex_numIfEPKS3_PKPS1_EvbiiT2_T3_lllSA_lllT4_llli
                                        ; -- End function
	.set _ZL24rocblas_symm_hemm_kernelILb0ELb0ELi32EPK19rocblas_complex_numIfEPKS3_PKPS1_EvbiiT2_T3_lllSA_lllT4_llli.num_vgpr, 75
	.set _ZL24rocblas_symm_hemm_kernelILb0ELb0ELi32EPK19rocblas_complex_numIfEPKS3_PKPS1_EvbiiT2_T3_lllSA_lllT4_llli.num_agpr, 0
	.set _ZL24rocblas_symm_hemm_kernelILb0ELb0ELi32EPK19rocblas_complex_numIfEPKS3_PKPS1_EvbiiT2_T3_lllSA_lllT4_llli.numbered_sgpr, 30
	.set _ZL24rocblas_symm_hemm_kernelILb0ELb0ELi32EPK19rocblas_complex_numIfEPKS3_PKPS1_EvbiiT2_T3_lllSA_lllT4_llli.num_named_barrier, 0
	.set _ZL24rocblas_symm_hemm_kernelILb0ELb0ELi32EPK19rocblas_complex_numIfEPKS3_PKPS1_EvbiiT2_T3_lllSA_lllT4_llli.private_seg_size, 0
	.set _ZL24rocblas_symm_hemm_kernelILb0ELb0ELi32EPK19rocblas_complex_numIfEPKS3_PKPS1_EvbiiT2_T3_lllSA_lllT4_llli.uses_vcc, 1
	.set _ZL24rocblas_symm_hemm_kernelILb0ELb0ELi32EPK19rocblas_complex_numIfEPKS3_PKPS1_EvbiiT2_T3_lllSA_lllT4_llli.uses_flat_scratch, 0
	.set _ZL24rocblas_symm_hemm_kernelILb0ELb0ELi32EPK19rocblas_complex_numIfEPKS3_PKPS1_EvbiiT2_T3_lllSA_lllT4_llli.has_dyn_sized_stack, 0
	.set _ZL24rocblas_symm_hemm_kernelILb0ELb0ELi32EPK19rocblas_complex_numIfEPKS3_PKPS1_EvbiiT2_T3_lllSA_lllT4_llli.has_recursion, 0
	.set _ZL24rocblas_symm_hemm_kernelILb0ELb0ELi32EPK19rocblas_complex_numIfEPKS3_PKPS1_EvbiiT2_T3_lllSA_lllT4_llli.has_indirect_call, 0
	.section	.AMDGPU.csdata,"",@progbits
; Kernel info:
; codeLenInByte = 2112
; TotalNumSgprs: 32
; NumVgprs: 75
; ScratchSize: 0
; MemoryBound: 0
; FloatMode: 240
; IeeeMode: 1
; LDSByteSize: 16384 bytes/workgroup (compile time only)
; SGPRBlocks: 0
; VGPRBlocks: 9
; NumSGPRsForWavesPerEU: 32
; NumVGPRsForWavesPerEU: 75
; Occupancy: 12
; WaveLimiterHint : 1
; COMPUTE_PGM_RSRC2:SCRATCH_EN: 0
; COMPUTE_PGM_RSRC2:USER_SGPR: 6
; COMPUTE_PGM_RSRC2:TRAP_HANDLER: 0
; COMPUTE_PGM_RSRC2:TGID_X_EN: 1
; COMPUTE_PGM_RSRC2:TGID_Y_EN: 1
; COMPUTE_PGM_RSRC2:TGID_Z_EN: 1
; COMPUTE_PGM_RSRC2:TIDIG_COMP_CNT: 1
	.section	.text._ZL24rocblas_symm_hemm_kernelILb0ELb1ELi32EPK19rocblas_complex_numIfEPKS3_PKPS1_EvbiiT2_T3_lllSA_lllT4_llli,"axG",@progbits,_ZL24rocblas_symm_hemm_kernelILb0ELb1ELi32EPK19rocblas_complex_numIfEPKS3_PKPS1_EvbiiT2_T3_lllSA_lllT4_llli,comdat
	.globl	_ZL24rocblas_symm_hemm_kernelILb0ELb1ELi32EPK19rocblas_complex_numIfEPKS3_PKPS1_EvbiiT2_T3_lllSA_lllT4_llli ; -- Begin function _ZL24rocblas_symm_hemm_kernelILb0ELb1ELi32EPK19rocblas_complex_numIfEPKS3_PKPS1_EvbiiT2_T3_lllSA_lllT4_llli
	.p2align	8
	.type	_ZL24rocblas_symm_hemm_kernelILb0ELb1ELi32EPK19rocblas_complex_numIfEPKS3_PKPS1_EvbiiT2_T3_lllSA_lllT4_llli,@function
_ZL24rocblas_symm_hemm_kernelILb0ELb1ELi32EPK19rocblas_complex_numIfEPKS3_PKPS1_EvbiiT2_T3_lllSA_lllT4_llli: ; @_ZL24rocblas_symm_hemm_kernelILb0ELb1ELi32EPK19rocblas_complex_numIfEPKS3_PKPS1_EvbiiT2_T3_lllSA_lllT4_llli
; %bb.0:
	s_load_dwordx8 s[12:19], s[4:5], 0x10
	s_waitcnt lgkmcnt(0)
	s_load_dwordx2 s[12:13], s[12:13], 0x0
	s_waitcnt lgkmcnt(0)
	v_cmp_eq_f32_e64 s0, s12, 0
	v_cmp_eq_f32_e64 s1, s13, 0
	s_and_b32 s0, s0, s1
	s_and_b32 vcc_lo, exec_lo, s0
	s_cbranch_vccnz .LBB46_13
; %bb.1:
	s_load_dwordx4 s[20:23], s[4:5], 0x0
	s_waitcnt lgkmcnt(0)
	s_add_i32 s0, s22, -1
	s_ashr_i32 s1, s0, 31
	s_lshr_b32 s1, s1, 27
	s_add_i32 s0, s0, s1
	s_ashr_i32 s23, s0, 5
	s_cmp_gt_i32 s7, s23
	s_cbranch_scc1 .LBB46_13
; %bb.2:
	s_mov_b32 s9, 0
	v_lshl_add_u32 v2, s6, 5, v0
	s_lshl_b64 s[26:27], s[8:9], 3
	v_lshlrev_b32_e32 v4, 3, v1
	s_add_u32 s0, s14, s26
	s_addc_u32 s1, s15, s27
	s_lshl_b64 s[28:29], s[16:17], 3
	s_load_dwordx2 s[24:25], s[0:1], 0x0
	s_clause 0x3
	s_load_dwordx4 s[0:3], s[4:5], 0x38
	s_load_dwordx4 s[8:11], s[4:5], 0x58
	s_load_dwordx2 s[14:15], s[4:5], 0x48
	s_load_dwordx2 s[16:17], s[4:5], 0x68
	v_ashrrev_i32_e32 v3, 31, v2
	s_load_dword s4, s[4:5], 0x84
	v_lshlrev_b32_e32 v10, 8, v0
	v_or_b32_e32 v11, 0x2000, v4
	v_add_nc_u32_e32 v12, v10, v4
	v_add_nc_u32_e32 v13, v11, v10
	;; [unrolled: 1-line block ×5, first 2 shown]
	s_waitcnt lgkmcnt(0)
	s_add_u32 s24, s24, s28
	s_addc_u32 s25, s25, s29
	s_add_u32 s0, s0, s26
	s_addc_u32 s1, s1, s27
	;; [unrolled: 2-line block ×3, first 2 shown]
	s_load_dwordx2 s[26:27], s[0:1], 0x0
	s_load_dwordx2 s[8:9], s[8:9], 0x0
	s_bitcmp1_b32 s20, 0
	v_cmp_gt_i32_e64 s0, s21, v2
	v_lshlrev_b64 v[2:3], 3, v[2:3]
	s_cselect_b32 s1, -1, 0
	s_lshl_b64 s[10:11], s[10:11], 3
	s_waitcnt lgkmcnt(0)
	s_add_u32 s5, s8, s10
	s_addc_u32 s6, s9, s11
	s_lshl_b64 s[2:3], s[2:3], 3
	v_add_co_u32 v16, vcc_lo, s5, v2
	s_add_u32 s2, s26, s2
	v_add_co_ci_u32_e64 v17, null, s6, v3, vcc_lo
	s_addc_u32 s3, s27, s3
	v_add_co_u32 v18, vcc_lo, s2, v2
	v_add_co_ci_u32_e64 v19, null, s3, v3, vcc_lo
	s_cmp_gt_i32 s22, 0
	s_cselect_b32 s3, -1, 0
	s_branch .LBB46_4
.LBB46_3:                               ;   in Loop: Header=BB46_4 Depth=1
	s_add_i32 s7, s7, s4
	s_cmp_gt_i32 s7, s23
	s_cbranch_scc1 .LBB46_13
.LBB46_4:                               ; =>This Loop Header: Depth=1
                                        ;     Child Loop BB46_7 Depth 2
	s_andn2_b32 vcc_lo, exec_lo, s3
	s_cbranch_vccnz .LBB46_3
; %bb.5:                                ;   in Loop: Header=BB46_4 Depth=1
	v_lshl_add_u32 v21, s7, 5, v1
	s_mov_b32 s5, 0
	v_ashrrev_i32_e32 v4, 31, v21
	v_mul_lo_u32 v5, s17, v21
	v_mad_u64_u32 v[2:3], null, s16, v21, 0
	v_cmp_gt_i32_e32 vcc_lo, s22, v21
	v_mul_lo_u32 v4, s16, v4
	v_add3_u32 v3, v3, v4, v5
	v_lshlrev_b64 v[2:3], 3, v[2:3]
	v_add_co_u32 v2, s2, v16, v2
	v_add_co_ci_u32_e64 v3, null, v17, v3, s2
	s_and_b32 s2, s0, vcc_lo
	s_branch .LBB46_7
.LBB46_6:                               ;   in Loop: Header=BB46_7 Depth=2
	s_or_b32 exec_lo, exec_lo, s6
	s_add_i32 s5, s5, 32
	s_waitcnt lgkmcnt(0)
	s_waitcnt_vscnt null, 0x0
	s_cmp_ge_i32 s5, s22
	s_barrier
	buffer_gl0_inv
	s_cbranch_scc1 .LBB46_3
.LBB46_7:                               ;   Parent Loop BB46_4 Depth=1
                                        ; =>  This Inner Loop Header: Depth=2
	v_add_nc_u32_e32 v5, s5, v1
	v_mov_b32_e32 v4, 0
	v_mov_b32_e32 v6, 0
	;; [unrolled: 1-line block ×3, first 2 shown]
	v_cmp_gt_i32_e32 vcc_lo, s22, v5
	s_and_b32 s8, s0, vcc_lo
	s_and_saveexec_b32 s6, s8
	s_cbranch_execz .LBB46_9
; %bb.8:                                ;   in Loop: Header=BB46_7 Depth=2
	v_ashrrev_i32_e32 v7, 31, v5
	v_mul_lo_u32 v8, s15, v5
	v_mad_u64_u32 v[5:6], null, s14, v5, 0
	v_mul_lo_u32 v7, s14, v7
	v_add3_u32 v6, v6, v7, v8
	v_lshlrev_b64 v[5:6], 3, v[5:6]
	v_add_co_u32 v5, vcc_lo, v18, v5
	v_add_co_ci_u32_e64 v6, null, v19, v6, vcc_lo
	flat_load_dwordx2 v[6:7], v[5:6]
.LBB46_9:                               ;   in Loop: Header=BB46_7 Depth=2
	s_or_b32 exec_lo, exec_lo, s6
	v_add_nc_u32_e32 v5, s5, v0
	s_waitcnt vmcnt(0) lgkmcnt(0)
	ds_write_b64 v12, v[6:7]
	v_cndmask_b32_e64 v8, v21, v5, s1
	v_cndmask_b32_e64 v9, v5, v21, s1
	v_cmp_gt_i32_e32 vcc_lo, v8, v9
	v_cndmask_b32_e32 v8, v5, v21, vcc_lo
	v_cndmask_b32_e32 v9, v21, v5, vcc_lo
	v_max_i32_e32 v5, v8, v9
	v_cmp_gt_i32_e32 vcc_lo, s22, v5
	v_mov_b32_e32 v5, 0
	s_and_saveexec_b32 s6, vcc_lo
	s_cbranch_execz .LBB46_11
; %bb.10:                               ;   in Loop: Header=BB46_7 Depth=2
	v_ashrrev_i32_e32 v6, 31, v9
	v_mul_lo_u32 v7, s19, v9
	v_mad_u64_u32 v[4:5], null, s18, v9, 0
	v_ashrrev_i32_e32 v9, 31, v8
	v_mul_lo_u32 v6, s18, v6
	v_add3_u32 v5, v5, v6, v7
	v_lshlrev_b64 v[6:7], 3, v[8:9]
	v_lshlrev_b64 v[4:5], 3, v[4:5]
	v_add_co_u32 v4, vcc_lo, s24, v4
	v_add_co_ci_u32_e64 v5, null, s25, v5, vcc_lo
	v_add_co_u32 v4, vcc_lo, v4, v6
	v_add_co_ci_u32_e64 v5, null, v5, v7, vcc_lo
	flat_load_dwordx2 v[4:5], v[4:5]
.LBB46_11:                              ;   in Loop: Header=BB46_7 Depth=2
	s_or_b32 exec_lo, exec_lo, s6
	s_waitcnt vmcnt(0) lgkmcnt(0)
	ds_write_b64 v13, v[4:5]
	s_waitcnt lgkmcnt(0)
	s_barrier
	buffer_gl0_inv
	s_and_saveexec_b32 s6, s2
	s_cbranch_execz .LBB46_6
; %bb.12:                               ;   in Loop: Header=BB46_7 Depth=2
	flat_load_dwordx2 v[4:5], v[2:3]
	ds_read2_b64 v[6:9], v11 offset1:32
	ds_read_b128 v[22:25], v10
	ds_read_b128 v[26:29], v10 offset:16
	ds_read2_b64 v[30:33], v11 offset0:64 offset1:96
	ds_read2_b64 v[34:37], v11 offset0:128 offset1:160
	ds_read_b128 v[38:41], v10 offset:32
	ds_read_b128 v[42:45], v10 offset:48
	ds_read2_b64 v[46:49], v11 offset0:192 offset1:224
	ds_read2_b64 v[50:53], v14 offset1:32
	ds_read_b128 v[54:57], v10 offset:64
	ds_read_b128 v[58:61], v10 offset:80
	s_waitcnt lgkmcnt(9)
	v_mul_f32_e32 v62, v7, v23
	v_mul_f32_e32 v63, v6, v23
	;; [unrolled: 1-line block ×3, first 2 shown]
	s_waitcnt lgkmcnt(7)
	v_mul_f32_e32 v66, v30, v27
	v_mul_f32_e32 v23, v9, v25
	v_fma_f32 v62, v6, v22, -v62
	v_fmac_f32_e32 v63, v7, v22
	v_mul_f32_e32 v22, v31, v27
	s_waitcnt lgkmcnt(5)
	v_mul_f32_e32 v27, v35, v39
	v_fmac_f32_e32 v64, v9, v24
	v_mul_f32_e32 v68, v34, v39
	v_fma_f32 v65, v8, v24, -v23
	ds_read2_b64 v[6:9], v14 offset0:64 offset1:96
	v_fma_f32 v72, v34, v38, -v27
	v_add_f32_e32 v34, 0, v63
	v_fmac_f32_e32 v68, v35, v38
	s_waitcnt lgkmcnt(4)
	v_mul_f32_e32 v35, v47, v43
	v_mul_f32_e32 v63, v46, v43
	;; [unrolled: 1-line block ×3, first 2 shown]
	v_add_f32_e32 v38, v34, v64
	v_add_f32_e32 v34, 0, v62
	v_mul_f32_e32 v67, v32, v29
	v_mul_f32_e32 v29, v37, v41
	v_fma_f32 v69, v30, v26, -v22
	v_fmac_f32_e32 v66, v31, v26
	v_fma_f32 v62, v46, v42, -v35
	v_fmac_f32_e32 v63, v47, v42
	v_add_f32_e32 v42, v34, v65
	v_fma_f32 v70, v32, v28, -v23
	v_fmac_f32_e32 v67, v33, v28
	v_mul_f32_e32 v71, v36, v41
	v_fma_f32 v73, v36, v40, -v29
	v_mul_f32_e32 v36, v49, v45
	v_mul_f32_e32 v64, v48, v45
	v_add_f32_e32 v43, v38, v66
	v_add_f32_e32 v42, v42, v69
	ds_read2_b64 v[22:25], v14 offset0:128 offset1:160
	v_fma_f32 v74, v48, v44, -v36
	v_fmac_f32_e32 v64, v49, v44
	s_waitcnt lgkmcnt(3)
	v_mul_f32_e32 v44, v51, v55
	v_mul_f32_e32 v55, v50, v55
	v_add_f32_e32 v43, v43, v67
	v_mul_f32_e32 v45, v53, v57
	v_mul_f32_e32 v57, v52, v57
	v_add_f32_e32 v42, v42, v70
	ds_read_b128 v[26:29], v10 offset:96
	ds_read_b128 v[30:33], v10 offset:112
	v_fmac_f32_e32 v71, v37, v40
	ds_read2_b64 v[34:37], v14 offset0:192 offset1:224
	s_waitcnt lgkmcnt(4)
	v_mul_f32_e32 v65, v7, v59
	v_add_f32_e32 v43, v43, v68
	v_mul_f32_e32 v59, v6, v59
	v_fma_f32 v66, v50, v54, -v44
	v_fmac_f32_e32 v55, v51, v54
	v_fma_f32 v54, v52, v56, -v45
	v_fmac_f32_e32 v57, v53, v56
	v_mul_f32_e32 v50, v9, v61
	v_mul_f32_e32 v56, v8, v61
	v_add_f32_e32 v51, v42, v72
	v_add_f32_e32 v52, v43, v71
	v_fma_f32 v61, v6, v58, -v65
	v_fmac_f32_e32 v59, v7, v58
	v_fma_f32 v58, v8, v60, -v50
	v_fmac_f32_e32 v56, v9, v60
	v_add_f32_e32 v60, v51, v73
	ds_read2_b64 v[38:41], v15 offset1:32
	v_add_f32_e32 v63, v52, v63
	ds_read_b128 v[42:45], v10 offset:128
	ds_read_b128 v[46:49], v10 offset:144
	s_waitcnt lgkmcnt(5)
	v_mul_f32_e32 v65, v23, v27
	v_add_f32_e32 v60, v60, v62
	v_mul_f32_e32 v62, v22, v27
	v_add_f32_e32 v27, v63, v64
	v_mul_f32_e32 v63, v25, v29
	v_mul_f32_e32 v64, v24, v29
	v_add_f32_e32 v29, v60, v74
	ds_read2_b64 v[6:9], v15 offset0:64 offset1:96
	s_waitcnt lgkmcnt(4)
	v_mul_f32_e32 v60, v35, v31
	v_add_f32_e32 v27, v27, v55
	v_mul_f32_e32 v55, v34, v31
	v_add_f32_e32 v66, v29, v66
	ds_read2_b64 v[50:53], v15 offset0:128 offset1:160
	v_fma_f32 v60, v34, v30, -v60
	v_add_f32_e32 v57, v27, v57
	v_fmac_f32_e32 v55, v35, v30
	v_add_f32_e32 v34, v66, v54
	v_fma_f32 v65, v22, v26, -v65
	s_waitcnt lgkmcnt(3)
	v_mul_f32_e32 v69, v39, v43
	v_add_f32_e32 v35, v57, v59
	v_mul_f32_e32 v54, v38, v43
	v_mul_f32_e32 v43, v41, v45
	;; [unrolled: 1-line block ×3, first 2 shown]
	v_add_f32_e32 v45, v34, v61
	v_fmac_f32_e32 v62, v23, v26
	v_add_f32_e32 v56, v35, v56
	v_fma_f32 v63, v24, v28, -v63
	v_fmac_f32_e32 v64, v25, v28
	v_add_f32_e32 v58, v45, v58
	ds_read_b128 v[22:25], v10 offset:160
	ds_read_b128 v[26:29], v10 offset:176
	v_add_f32_e32 v56, v56, v62
	s_waitcnt lgkmcnt(3)
	v_mul_f32_e32 v62, v7, v47
	v_mul_f32_e32 v66, v6, v47
	v_add_f32_e32 v47, v58, v65
	v_mul_f32_e32 v31, v37, v33
	v_mul_f32_e32 v67, v36, v33
	v_add_f32_e32 v56, v56, v64
	v_fma_f32 v62, v6, v46, -v62
	v_fmac_f32_e32 v66, v7, v46
	v_add_f32_e32 v46, v47, v63
	v_fma_f32 v68, v36, v32, -v31
	v_fmac_f32_e32 v67, v37, v32
	v_add_f32_e32 v55, v56, v55
	ds_read2_b64 v[30:33], v15 offset0:192 offset1:224
	v_add_f32_e32 v56, v46, v60
	v_fma_f32 v59, v38, v42, -v69
	v_fmac_f32_e32 v54, v39, v42
	v_fma_f32 v61, v40, v44, -v43
	s_waitcnt lgkmcnt(2)
	v_mul_f32_e32 v60, v51, v23
	v_mul_f32_e32 v63, v50, v23
	v_add_f32_e32 v23, v55, v67
	v_add_f32_e32 v55, v56, v68
	v_fmac_f32_e32 v57, v41, v44
	v_mul_f32_e32 v56, v53, v25
	v_mul_f32_e32 v65, v52, v25
	v_add_f32_e32 v23, v23, v54
	v_add_f32_e32 v25, v55, v59
	v_mul_f32_e32 v58, v9, v49
	v_mul_f32_e32 v64, v8, v49
	ds_read2_b64 v[34:37], v20 offset1:32
	v_add_f32_e32 v67, v23, v57
	v_add_f32_e32 v61, v25, v61
	v_fma_f32 v58, v8, v48, -v58
	v_fmac_f32_e32 v64, v9, v48
	ds_read_b128 v[38:41], v10 offset:192
	ds_read_b128 v[42:45], v10 offset:208
	v_add_f32_e32 v66, v67, v66
	v_add_f32_e32 v61, v61, v62
	v_fma_f32 v60, v50, v22, -v60
	v_fmac_f32_e32 v63, v51, v22
	s_waitcnt lgkmcnt(3)
	v_mul_f32_e32 v67, v31, v27
	v_mul_f32_e32 v27, v30, v27
	v_mul_f32_e32 v62, v33, v29
	v_add_f32_e32 v64, v66, v64
	v_mul_f32_e32 v29, v32, v29
	v_add_f32_e32 v58, v61, v58
	ds_read2_b64 v[6:9], v20 offset0:64 offset1:96
	v_fma_f32 v59, v52, v24, -v56
	v_fmac_f32_e32 v65, v53, v24
	v_fma_f32 v30, v30, v26, -v67
	v_fmac_f32_e32 v27, v31, v26
	;; [unrolled: 2-line block ×3, first 2 shown]
	v_add_f32_e32 v32, v64, v63
	v_add_f32_e32 v33, v58, v60
	ds_read2_b64 v[46:49], v20 offset0:128 offset1:160
	s_waitcnt lgkmcnt(3)
	v_mul_f32_e32 v61, v35, v39
	v_mul_f32_e32 v28, v34, v39
	v_add_f32_e32 v32, v32, v65
	v_add_f32_e32 v33, v33, v59
	ds_read_b128 v[22:25], v10 offset:224
	ds_read_b128 v[50:53], v10 offset:240
	ds_read2_b64 v[54:57], v20 offset0:192 offset1:224
	v_mul_f32_e32 v31, v37, v41
	v_mul_f32_e32 v39, v36, v41
	v_add_f32_e32 v27, v32, v27
	v_add_f32_e32 v30, v33, v30
	v_fmac_f32_e32 v28, v35, v38
	v_fma_f32 v32, v34, v38, -v61
	s_waitcnt lgkmcnt(4)
	v_mul_f32_e32 v41, v7, v43
	v_add_f32_e32 v27, v27, v29
	v_add_f32_e32 v26, v30, v26
	v_mul_f32_e32 v43, v6, v43
	v_fma_f32 v30, v36, v40, -v31
	v_fmac_f32_e32 v39, v37, v40
	v_add_f32_e32 v27, v27, v28
	v_add_f32_e32 v26, v26, v32
	v_mul_f32_e32 v58, v9, v45
	v_mul_f32_e32 v45, v8, v45
	v_fma_f32 v6, v6, v42, -v41
	v_fmac_f32_e32 v43, v7, v42
	v_add_f32_e32 v7, v27, v39
	v_add_f32_e32 v26, v26, v30
	s_waitcnt lgkmcnt(2)
	v_mul_f32_e32 v59, v47, v23
	v_mul_f32_e32 v23, v46, v23
	v_fma_f32 v8, v8, v44, -v58
	v_fmac_f32_e32 v45, v9, v44
	v_add_f32_e32 v7, v7, v43
	v_add_f32_e32 v6, v26, v6
	v_mul_f32_e32 v29, v49, v25
	v_mul_f32_e32 v25, v48, v25
	v_fma_f32 v26, v46, v22, -v59
	v_fmac_f32_e32 v23, v47, v22
	v_add_f32_e32 v7, v7, v45
	v_add_f32_e32 v6, v6, v8
	s_waitcnt lgkmcnt(0)
	v_mul_f32_e32 v27, v55, v51
	v_mul_f32_e32 v9, v54, v51
	v_fma_f32 v22, v48, v24, -v29
	v_fmac_f32_e32 v25, v49, v24
	v_add_f32_e32 v7, v7, v23
	v_add_f32_e32 v6, v6, v26
	v_mul_f32_e32 v8, v57, v53
	v_mul_f32_e32 v23, v56, v53
	v_fma_f32 v24, v54, v50, -v27
	v_fmac_f32_e32 v9, v55, v50
	v_add_f32_e32 v7, v7, v25
	v_add_f32_e32 v6, v6, v22
	v_fma_f32 v8, v56, v52, -v8
	v_fmac_f32_e32 v23, v57, v52
	v_add_f32_e32 v7, v7, v9
	v_add_f32_e32 v6, v6, v24
	;; [unrolled: 1-line block ×4, first 2 shown]
	v_mul_f32_e32 v8, s13, v7
	v_mul_f32_e32 v9, s13, v6
	v_fma_f32 v6, s12, v6, -v8
	v_fmac_f32_e32 v9, s12, v7
	s_waitcnt vmcnt(0)
	v_add_f32_e32 v4, v4, v6
	v_add_f32_e32 v5, v5, v9
	flat_store_dwordx2 v[2:3], v[4:5]
	s_branch .LBB46_6
.LBB46_13:
	s_endpgm
	.section	.rodata,"a",@progbits
	.p2align	6, 0x0
	.amdhsa_kernel _ZL24rocblas_symm_hemm_kernelILb0ELb1ELi32EPK19rocblas_complex_numIfEPKS3_PKPS1_EvbiiT2_T3_lllSA_lllT4_llli
		.amdhsa_group_segment_fixed_size 16384
		.amdhsa_private_segment_fixed_size 0
		.amdhsa_kernarg_size 384
		.amdhsa_user_sgpr_count 6
		.amdhsa_user_sgpr_private_segment_buffer 1
		.amdhsa_user_sgpr_dispatch_ptr 0
		.amdhsa_user_sgpr_queue_ptr 0
		.amdhsa_user_sgpr_kernarg_segment_ptr 1
		.amdhsa_user_sgpr_dispatch_id 0
		.amdhsa_user_sgpr_flat_scratch_init 0
		.amdhsa_user_sgpr_private_segment_size 0
		.amdhsa_wavefront_size32 1
		.amdhsa_uses_dynamic_stack 0
		.amdhsa_system_sgpr_private_segment_wavefront_offset 0
		.amdhsa_system_sgpr_workgroup_id_x 1
		.amdhsa_system_sgpr_workgroup_id_y 1
		.amdhsa_system_sgpr_workgroup_id_z 1
		.amdhsa_system_sgpr_workgroup_info 0
		.amdhsa_system_vgpr_workitem_id 1
		.amdhsa_next_free_vgpr 75
		.amdhsa_next_free_sgpr 30
		.amdhsa_reserve_vcc 1
		.amdhsa_reserve_flat_scratch 0
		.amdhsa_float_round_mode_32 0
		.amdhsa_float_round_mode_16_64 0
		.amdhsa_float_denorm_mode_32 3
		.amdhsa_float_denorm_mode_16_64 3
		.amdhsa_dx10_clamp 1
		.amdhsa_ieee_mode 1
		.amdhsa_fp16_overflow 0
		.amdhsa_workgroup_processor_mode 1
		.amdhsa_memory_ordered 1
		.amdhsa_forward_progress 1
		.amdhsa_shared_vgpr_count 0
		.amdhsa_exception_fp_ieee_invalid_op 0
		.amdhsa_exception_fp_denorm_src 0
		.amdhsa_exception_fp_ieee_div_zero 0
		.amdhsa_exception_fp_ieee_overflow 0
		.amdhsa_exception_fp_ieee_underflow 0
		.amdhsa_exception_fp_ieee_inexact 0
		.amdhsa_exception_int_div_zero 0
	.end_amdhsa_kernel
	.section	.text._ZL24rocblas_symm_hemm_kernelILb0ELb1ELi32EPK19rocblas_complex_numIfEPKS3_PKPS1_EvbiiT2_T3_lllSA_lllT4_llli,"axG",@progbits,_ZL24rocblas_symm_hemm_kernelILb0ELb1ELi32EPK19rocblas_complex_numIfEPKS3_PKPS1_EvbiiT2_T3_lllSA_lllT4_llli,comdat
.Lfunc_end46:
	.size	_ZL24rocblas_symm_hemm_kernelILb0ELb1ELi32EPK19rocblas_complex_numIfEPKS3_PKPS1_EvbiiT2_T3_lllSA_lllT4_llli, .Lfunc_end46-_ZL24rocblas_symm_hemm_kernelILb0ELb1ELi32EPK19rocblas_complex_numIfEPKS3_PKPS1_EvbiiT2_T3_lllSA_lllT4_llli
                                        ; -- End function
	.set _ZL24rocblas_symm_hemm_kernelILb0ELb1ELi32EPK19rocblas_complex_numIfEPKS3_PKPS1_EvbiiT2_T3_lllSA_lllT4_llli.num_vgpr, 75
	.set _ZL24rocblas_symm_hemm_kernelILb0ELb1ELi32EPK19rocblas_complex_numIfEPKS3_PKPS1_EvbiiT2_T3_lllSA_lllT4_llli.num_agpr, 0
	.set _ZL24rocblas_symm_hemm_kernelILb0ELb1ELi32EPK19rocblas_complex_numIfEPKS3_PKPS1_EvbiiT2_T3_lllSA_lllT4_llli.numbered_sgpr, 30
	.set _ZL24rocblas_symm_hemm_kernelILb0ELb1ELi32EPK19rocblas_complex_numIfEPKS3_PKPS1_EvbiiT2_T3_lllSA_lllT4_llli.num_named_barrier, 0
	.set _ZL24rocblas_symm_hemm_kernelILb0ELb1ELi32EPK19rocblas_complex_numIfEPKS3_PKPS1_EvbiiT2_T3_lllSA_lllT4_llli.private_seg_size, 0
	.set _ZL24rocblas_symm_hemm_kernelILb0ELb1ELi32EPK19rocblas_complex_numIfEPKS3_PKPS1_EvbiiT2_T3_lllSA_lllT4_llli.uses_vcc, 1
	.set _ZL24rocblas_symm_hemm_kernelILb0ELb1ELi32EPK19rocblas_complex_numIfEPKS3_PKPS1_EvbiiT2_T3_lllSA_lllT4_llli.uses_flat_scratch, 0
	.set _ZL24rocblas_symm_hemm_kernelILb0ELb1ELi32EPK19rocblas_complex_numIfEPKS3_PKPS1_EvbiiT2_T3_lllSA_lllT4_llli.has_dyn_sized_stack, 0
	.set _ZL24rocblas_symm_hemm_kernelILb0ELb1ELi32EPK19rocblas_complex_numIfEPKS3_PKPS1_EvbiiT2_T3_lllSA_lllT4_llli.has_recursion, 0
	.set _ZL24rocblas_symm_hemm_kernelILb0ELb1ELi32EPK19rocblas_complex_numIfEPKS3_PKPS1_EvbiiT2_T3_lllSA_lllT4_llli.has_indirect_call, 0
	.section	.AMDGPU.csdata,"",@progbits
; Kernel info:
; codeLenInByte = 2080
; TotalNumSgprs: 32
; NumVgprs: 75
; ScratchSize: 0
; MemoryBound: 0
; FloatMode: 240
; IeeeMode: 1
; LDSByteSize: 16384 bytes/workgroup (compile time only)
; SGPRBlocks: 0
; VGPRBlocks: 9
; NumSGPRsForWavesPerEU: 32
; NumVGPRsForWavesPerEU: 75
; Occupancy: 12
; WaveLimiterHint : 1
; COMPUTE_PGM_RSRC2:SCRATCH_EN: 0
; COMPUTE_PGM_RSRC2:USER_SGPR: 6
; COMPUTE_PGM_RSRC2:TRAP_HANDLER: 0
; COMPUTE_PGM_RSRC2:TGID_X_EN: 1
; COMPUTE_PGM_RSRC2:TGID_Y_EN: 1
; COMPUTE_PGM_RSRC2:TGID_Z_EN: 1
; COMPUTE_PGM_RSRC2:TIDIG_COMP_CNT: 1
	.section	.text._ZL25rocblas_symm_scale_kernelILi128ELi8E19rocblas_complex_numIfEPKPS1_EviiT1_T2_llli,"axG",@progbits,_ZL25rocblas_symm_scale_kernelILi128ELi8E19rocblas_complex_numIfEPKPS1_EviiT1_T2_llli,comdat
	.globl	_ZL25rocblas_symm_scale_kernelILi128ELi8E19rocblas_complex_numIfEPKPS1_EviiT1_T2_llli ; -- Begin function _ZL25rocblas_symm_scale_kernelILi128ELi8E19rocblas_complex_numIfEPKPS1_EviiT1_T2_llli
	.p2align	8
	.type	_ZL25rocblas_symm_scale_kernelILi128ELi8E19rocblas_complex_numIfEPKPS1_EviiT1_T2_llli,@function
_ZL25rocblas_symm_scale_kernelILi128ELi8E19rocblas_complex_numIfEPKPS1_EviiT1_T2_llli: ; @_ZL25rocblas_symm_scale_kernelILi128ELi8E19rocblas_complex_numIfEPKPS1_EviiT1_T2_llli
; %bb.0:
	s_load_dwordx4 s[0:3], s[4:5], 0x0
	s_waitcnt lgkmcnt(0)
	v_cmp_eq_f32_e64 s9, s2, 1.0
	v_cmp_eq_f32_e64 s10, s3, 0
	s_and_b32 s9, s9, s10
	s_and_b32 vcc_lo, exec_lo, s9
	s_cbranch_vccnz .LBB47_6
; %bb.1:
	v_lshl_add_u32 v1, s7, 3, v1
	v_mov_b32_e32 v2, 0
	v_lshl_add_u32 v3, s6, 7, v0
	s_ashr_i32 s7, s1, 31
	s_mov_b32 s6, s1
	v_cmp_gt_i64_e32 vcc_lo, s[6:7], v[1:2]
	v_cmp_gt_u32_e64 s0, s0, v3
	s_and_b32 s0, s0, vcc_lo
	s_and_saveexec_b32 s1, s0
	s_cbranch_execz .LBB47_6
; %bb.2:
	s_clause 0x1
	s_load_dwordx2 s[10:11], s[4:5], 0x20
	s_load_dwordx4 s[12:15], s[4:5], 0x10
	s_mov_b32 s9, 0
	s_load_dword s16, s[4:5], 0x3c
	s_lshl_b64 s[0:1], s[8:9], 3
	v_mov_b32_e32 v4, v2
	v_lshlrev_b64 v[3:4], 3, v[3:4]
	s_waitcnt lgkmcnt(0)
	v_mad_u64_u32 v[5:6], null, s10, v1, 0
	s_add_u32 s0, s12, s0
	s_addc_u32 s1, s13, s1
	s_or_b32 s8, s2, s3
	s_load_dwordx2 s[4:5], s[0:1], 0x0
	s_bitset0_b32 s8, 31
	s_cmp_lg_u32 s8, 0
	v_mov_b32_e32 v0, v6
	s_cselect_b32 s1, -1, 0
	s_lshl_b64 s[12:13], s[14:15], 3
	s_lshl_b32 s8, s16, 3
	v_mad_u64_u32 v[6:7], null, s11, v1, v[0:1]
	s_mul_i32 s0, s11, s8
	s_mul_hi_u32 s11, s10, s8
	s_mul_i32 s10, s10, s8
	s_add_i32 s11, s11, s0
	v_lshlrev_b64 v[5:6], 3, v[5:6]
	v_add_co_u32 v0, vcc_lo, v5, s12
	v_add_co_ci_u32_e64 v5, null, s13, v6, vcc_lo
	v_add_co_u32 v0, vcc_lo, v0, v3
	v_add_co_ci_u32_e64 v4, null, v5, v4, vcc_lo
	s_waitcnt lgkmcnt(0)
	v_add_co_u32 v3, vcc_lo, s4, v0
	v_add_co_ci_u32_e64 v4, null, s5, v4, vcc_lo
	s_lshl_b64 s[4:5], s[10:11], 3
	s_inst_prefetch 0x1
	s_branch .LBB47_4
	.p2align	6
.LBB47_3:                               ;   in Loop: Header=BB47_4 Depth=1
	v_add_co_u32 v1, vcc_lo, v1, s8
	v_add_co_ci_u32_e64 v2, null, 0, v2, vcc_lo
	flat_store_dwordx2 v[3:4], v[5:6]
	v_add_co_u32 v3, s0, v3, s4
	v_cmp_le_i64_e32 vcc_lo, s[6:7], v[1:2]
	v_add_co_ci_u32_e64 v4, null, s5, v4, s0
	s_or_b32 s9, vcc_lo, s9
	s_andn2_b32 exec_lo, exec_lo, s9
	s_cbranch_execz .LBB47_6
.LBB47_4:                               ; =>This Inner Loop Header: Depth=1
	v_mov_b32_e32 v6, 0
	v_mov_b32_e32 v5, 0
	s_andn2_b32 vcc_lo, exec_lo, s1
	s_cbranch_vccnz .LBB47_3
; %bb.5:                                ;   in Loop: Header=BB47_4 Depth=1
	flat_load_dwordx2 v[7:8], v[3:4]
	s_waitcnt vmcnt(0) lgkmcnt(0)
	v_mul_f32_e32 v0, s3, v8
	v_mul_f32_e32 v6, s2, v8
	v_fma_f32 v5, v7, s2, -v0
	v_fmac_f32_e32 v6, s3, v7
	s_branch .LBB47_3
.LBB47_6:
	s_inst_prefetch 0x2
	s_endpgm
	.section	.rodata,"a",@progbits
	.p2align	6, 0x0
	.amdhsa_kernel _ZL25rocblas_symm_scale_kernelILi128ELi8E19rocblas_complex_numIfEPKPS1_EviiT1_T2_llli
		.amdhsa_group_segment_fixed_size 0
		.amdhsa_private_segment_fixed_size 0
		.amdhsa_kernarg_size 312
		.amdhsa_user_sgpr_count 6
		.amdhsa_user_sgpr_private_segment_buffer 1
		.amdhsa_user_sgpr_dispatch_ptr 0
		.amdhsa_user_sgpr_queue_ptr 0
		.amdhsa_user_sgpr_kernarg_segment_ptr 1
		.amdhsa_user_sgpr_dispatch_id 0
		.amdhsa_user_sgpr_flat_scratch_init 0
		.amdhsa_user_sgpr_private_segment_size 0
		.amdhsa_wavefront_size32 1
		.amdhsa_uses_dynamic_stack 0
		.amdhsa_system_sgpr_private_segment_wavefront_offset 0
		.amdhsa_system_sgpr_workgroup_id_x 1
		.amdhsa_system_sgpr_workgroup_id_y 1
		.amdhsa_system_sgpr_workgroup_id_z 1
		.amdhsa_system_sgpr_workgroup_info 0
		.amdhsa_system_vgpr_workitem_id 1
		.amdhsa_next_free_vgpr 9
		.amdhsa_next_free_sgpr 17
		.amdhsa_reserve_vcc 1
		.amdhsa_reserve_flat_scratch 0
		.amdhsa_float_round_mode_32 0
		.amdhsa_float_round_mode_16_64 0
		.amdhsa_float_denorm_mode_32 3
		.amdhsa_float_denorm_mode_16_64 3
		.amdhsa_dx10_clamp 1
		.amdhsa_ieee_mode 1
		.amdhsa_fp16_overflow 0
		.amdhsa_workgroup_processor_mode 1
		.amdhsa_memory_ordered 1
		.amdhsa_forward_progress 1
		.amdhsa_shared_vgpr_count 0
		.amdhsa_exception_fp_ieee_invalid_op 0
		.amdhsa_exception_fp_denorm_src 0
		.amdhsa_exception_fp_ieee_div_zero 0
		.amdhsa_exception_fp_ieee_overflow 0
		.amdhsa_exception_fp_ieee_underflow 0
		.amdhsa_exception_fp_ieee_inexact 0
		.amdhsa_exception_int_div_zero 0
	.end_amdhsa_kernel
	.section	.text._ZL25rocblas_symm_scale_kernelILi128ELi8E19rocblas_complex_numIfEPKPS1_EviiT1_T2_llli,"axG",@progbits,_ZL25rocblas_symm_scale_kernelILi128ELi8E19rocblas_complex_numIfEPKPS1_EviiT1_T2_llli,comdat
.Lfunc_end47:
	.size	_ZL25rocblas_symm_scale_kernelILi128ELi8E19rocblas_complex_numIfEPKPS1_EviiT1_T2_llli, .Lfunc_end47-_ZL25rocblas_symm_scale_kernelILi128ELi8E19rocblas_complex_numIfEPKPS1_EviiT1_T2_llli
                                        ; -- End function
	.set _ZL25rocblas_symm_scale_kernelILi128ELi8E19rocblas_complex_numIfEPKPS1_EviiT1_T2_llli.num_vgpr, 9
	.set _ZL25rocblas_symm_scale_kernelILi128ELi8E19rocblas_complex_numIfEPKPS1_EviiT1_T2_llli.num_agpr, 0
	.set _ZL25rocblas_symm_scale_kernelILi128ELi8E19rocblas_complex_numIfEPKPS1_EviiT1_T2_llli.numbered_sgpr, 17
	.set _ZL25rocblas_symm_scale_kernelILi128ELi8E19rocblas_complex_numIfEPKPS1_EviiT1_T2_llli.num_named_barrier, 0
	.set _ZL25rocblas_symm_scale_kernelILi128ELi8E19rocblas_complex_numIfEPKPS1_EviiT1_T2_llli.private_seg_size, 0
	.set _ZL25rocblas_symm_scale_kernelILi128ELi8E19rocblas_complex_numIfEPKPS1_EviiT1_T2_llli.uses_vcc, 1
	.set _ZL25rocblas_symm_scale_kernelILi128ELi8E19rocblas_complex_numIfEPKPS1_EviiT1_T2_llli.uses_flat_scratch, 0
	.set _ZL25rocblas_symm_scale_kernelILi128ELi8E19rocblas_complex_numIfEPKPS1_EviiT1_T2_llli.has_dyn_sized_stack, 0
	.set _ZL25rocblas_symm_scale_kernelILi128ELi8E19rocblas_complex_numIfEPKPS1_EviiT1_T2_llli.has_recursion, 0
	.set _ZL25rocblas_symm_scale_kernelILi128ELi8E19rocblas_complex_numIfEPKPS1_EviiT1_T2_llli.has_indirect_call, 0
	.section	.AMDGPU.csdata,"",@progbits
; Kernel info:
; codeLenInByte = 436
; TotalNumSgprs: 19
; NumVgprs: 9
; ScratchSize: 0
; MemoryBound: 0
; FloatMode: 240
; IeeeMode: 1
; LDSByteSize: 0 bytes/workgroup (compile time only)
; SGPRBlocks: 0
; VGPRBlocks: 1
; NumSGPRsForWavesPerEU: 19
; NumVGPRsForWavesPerEU: 9
; Occupancy: 16
; WaveLimiterHint : 0
; COMPUTE_PGM_RSRC2:SCRATCH_EN: 0
; COMPUTE_PGM_RSRC2:USER_SGPR: 6
; COMPUTE_PGM_RSRC2:TRAP_HANDLER: 0
; COMPUTE_PGM_RSRC2:TGID_X_EN: 1
; COMPUTE_PGM_RSRC2:TGID_Y_EN: 1
; COMPUTE_PGM_RSRC2:TGID_Z_EN: 1
; COMPUTE_PGM_RSRC2:TIDIG_COMP_CNT: 1
	.section	.text._ZL24rocblas_symm_hemm_kernelILb0ELb0ELi32E19rocblas_complex_numIfEPKPKS1_PKPS1_EvbiiT2_T3_lllSA_lllT4_llli,"axG",@progbits,_ZL24rocblas_symm_hemm_kernelILb0ELb0ELi32E19rocblas_complex_numIfEPKPKS1_PKPS1_EvbiiT2_T3_lllSA_lllT4_llli,comdat
	.globl	_ZL24rocblas_symm_hemm_kernelILb0ELb0ELi32E19rocblas_complex_numIfEPKPKS1_PKPS1_EvbiiT2_T3_lllSA_lllT4_llli ; -- Begin function _ZL24rocblas_symm_hemm_kernelILb0ELb0ELi32E19rocblas_complex_numIfEPKPKS1_PKPS1_EvbiiT2_T3_lllSA_lllT4_llli
	.p2align	8
	.type	_ZL24rocblas_symm_hemm_kernelILb0ELb0ELi32E19rocblas_complex_numIfEPKPKS1_PKPS1_EvbiiT2_T3_lllSA_lllT4_llli,@function
_ZL24rocblas_symm_hemm_kernelILb0ELb0ELi32E19rocblas_complex_numIfEPKPKS1_PKPS1_EvbiiT2_T3_lllSA_lllT4_llli: ; @_ZL24rocblas_symm_hemm_kernelILb0ELb0ELi32E19rocblas_complex_numIfEPKPKS1_PKPS1_EvbiiT2_T3_lllSA_lllT4_llli
; %bb.0:
	s_clause 0x1
	s_load_dwordx4 s[12:15], s[4:5], 0x0
	s_load_dword s18, s[4:5], 0x10
	s_waitcnt lgkmcnt(0)
	v_cmp_eq_f32_e64 s0, s15, 0
	v_cmp_eq_f32_e64 s1, s18, 0
	s_and_b32 s0, s0, s1
	s_and_b32 vcc_lo, exec_lo, s0
	s_cbranch_vccnz .LBB48_13
; %bb.1:
	s_add_i32 s0, s14, -1
	s_ashr_i32 s1, s0, 31
	s_lshr_b32 s1, s1, 27
	s_add_i32 s0, s0, s1
	s_ashr_i32 s19, s0, 5
	s_cmp_gt_i32 s7, s19
	s_cbranch_scc1 .LBB48_13
; %bb.2:
	s_load_dwordx4 s[0:3], s[4:5], 0x18
	s_mov_b32 s9, 0
	v_lshl_add_u32 v2, s6, 5, v0
	s_lshl_b64 s[16:17], s[8:9], 3
	s_clause 0x1
	s_load_dwordx2 s[8:9], s[4:5], 0x28
	s_load_dwordx2 s[10:11], s[4:5], 0x48
	v_lshlrev_b32_e32 v4, 3, v1
	v_lshlrev_b32_e32 v11, 8, v0
	v_ashrrev_i32_e32 v3, 31, v2
	v_or_b32_e32 v12, 0x2000, v4
	v_add_nc_u32_e32 v13, v11, v4
	v_lshlrev_b64 v[3:4], 3, v[2:3]
	v_add_nc_u32_e32 v14, v12, v11
	v_add_nc_u32_e32 v15, 0x800, v12
	;; [unrolled: 1-line block ×4, first 2 shown]
	s_waitcnt lgkmcnt(0)
	s_add_u32 s0, s0, s16
	s_addc_u32 s1, s1, s17
	s_lshl_b64 s[2:3], s[2:3], 3
	s_load_dwordx2 s[0:1], s[0:1], 0x0
	s_load_dwordx4 s[24:27], s[4:5], 0x38
	s_waitcnt lgkmcnt(0)
	s_add_u32 s20, s0, s2
	s_addc_u32 s21, s1, s3
	s_add_u32 s0, s24, s16
	s_addc_u32 s1, s25, s17
	s_lshl_b64 s[24:25], s[26:27], 3
	s_load_dwordx2 s[22:23], s[0:1], 0x0
	s_load_dwordx4 s[0:3], s[4:5], 0x58
	s_waitcnt lgkmcnt(0)
	s_add_u32 s22, s22, s24
	s_addc_u32 s23, s23, s25
	s_add_u32 s0, s0, s16
	s_addc_u32 s1, s1, s17
	s_load_dwordx2 s[16:17], s[4:5], 0x68
	s_load_dwordx2 s[24:25], s[0:1], 0x0
	s_load_dword s4, s[4:5], 0x84
	s_bitcmp1_b32 s12, 0
	v_cmp_gt_i32_e64 s0, s13, v2
	s_cselect_b32 s1, -1, 0
	s_lshl_b64 s[2:3], s[2:3], 3
	s_waitcnt lgkmcnt(0)
	s_add_u32 s2, s24, s2
	s_addc_u32 s3, s25, s3
	v_add_co_u32 v17, vcc_lo, s2, v3
	v_add_co_ci_u32_e64 v18, null, s3, v4, vcc_lo
	s_cmp_gt_i32 s13, 0
	s_cselect_b32 s3, -1, 0
	s_branch .LBB48_4
.LBB48_3:                               ;   in Loop: Header=BB48_4 Depth=1
	s_add_i32 s7, s7, s4
	s_cmp_gt_i32 s7, s19
	s_cbranch_scc1 .LBB48_13
.LBB48_4:                               ; =>This Loop Header: Depth=1
                                        ;     Child Loop BB48_7 Depth 2
	s_andn2_b32 vcc_lo, exec_lo, s3
	s_cbranch_vccnz .LBB48_3
; %bb.5:                                ;   in Loop: Header=BB48_4 Depth=1
	v_lshl_add_u32 v7, s7, 5, v1
	s_mov_b32 s6, 0
	v_ashrrev_i32_e32 v8, 31, v7
	v_mul_lo_u32 v9, s11, v7
	v_mad_u64_u32 v[3:4], null, s10, v7, 0
	v_mul_lo_u32 v20, s17, v7
	v_mul_lo_u32 v10, s10, v8
	v_mad_u64_u32 v[5:6], null, s16, v7, 0
	v_mul_lo_u32 v8, s16, v8
	v_cmp_gt_i32_e32 vcc_lo, s14, v7
	v_add3_u32 v4, v4, v10, v9
	s_and_b32 s5, s0, vcc_lo
	v_add3_u32 v6, v6, v8, v20
	v_lshlrev_b64 v[3:4], 3, v[3:4]
	v_lshlrev_b64 v[5:6], 3, v[5:6]
	v_add_co_u32 v20, s2, s22, v3
	v_add_co_ci_u32_e64 v21, null, s23, v4, s2
	v_add_co_u32 v3, s2, v17, v5
	v_add_co_ci_u32_e64 v4, null, v18, v6, s2
	s_branch .LBB48_7
.LBB48_6:                               ;   in Loop: Header=BB48_7 Depth=2
	s_or_b32 exec_lo, exec_lo, s2
	s_add_i32 s6, s6, 32
	s_waitcnt lgkmcnt(0)
	s_waitcnt_vscnt null, 0x0
	s_cmp_ge_i32 s6, s13
	s_barrier
	buffer_gl0_inv
	s_cbranch_scc1 .LBB48_3
.LBB48_7:                               ;   Parent Loop BB48_4 Depth=1
                                        ; =>  This Inner Loop Header: Depth=2
	v_add_nc_u32_e32 v5, s6, v1
	v_cndmask_b32_e64 v6, v5, v2, s1
	v_cndmask_b32_e64 v7, v2, v5, s1
	v_cmp_gt_i32_e64 s2, v6, v7
	v_mov_b32_e32 v7, 0
	v_cndmask_b32_e64 v6, v2, v5, s2
	v_cndmask_b32_e64 v9, v5, v2, s2
	v_mov_b32_e32 v5, 0
	v_max_i32_e32 v8, v6, v9
	v_cmp_gt_i32_e64 s2, s13, v8
	v_mov_b32_e32 v8, 0
	s_and_saveexec_b32 s12, s2
	s_cbranch_execz .LBB48_9
; %bb.8:                                ;   in Loop: Header=BB48_7 Depth=2
	v_ashrrev_i32_e32 v7, 31, v9
	v_mul_lo_u32 v10, s9, v9
	v_mad_u64_u32 v[8:9], null, s8, v9, 0
	v_mul_lo_u32 v7, s8, v7
	v_add3_u32 v9, v9, v7, v10
	v_ashrrev_i32_e32 v7, 31, v6
	v_lshlrev_b64 v[8:9], 3, v[8:9]
	v_lshlrev_b64 v[6:7], 3, v[6:7]
	v_add_co_u32 v8, s2, s20, v8
	v_add_co_ci_u32_e64 v9, null, s21, v9, s2
	v_add_co_u32 v6, s2, v8, v6
	v_add_co_ci_u32_e64 v7, null, v9, v7, s2
	flat_load_dwordx2 v[7:8], v[6:7]
.LBB48_9:                               ;   in Loop: Header=BB48_7 Depth=2
	s_or_b32 exec_lo, exec_lo, s12
	v_add_nc_u32_e32 v9, s6, v0
	v_mov_b32_e32 v6, 0
	s_waitcnt vmcnt(0) lgkmcnt(0)
	ds_write_b64 v13, v[7:8]
	v_cmp_gt_i32_e64 s2, s13, v9
	s_and_b32 s2, s2, vcc_lo
	s_and_saveexec_b32 s12, s2
	s_cbranch_execz .LBB48_11
; %bb.10:                               ;   in Loop: Header=BB48_7 Depth=2
	v_ashrrev_i32_e32 v10, 31, v9
	v_lshlrev_b64 v[5:6], 3, v[9:10]
	v_add_co_u32 v5, s2, v20, v5
	v_add_co_ci_u32_e64 v6, null, v21, v6, s2
	flat_load_dwordx2 v[5:6], v[5:6]
.LBB48_11:                              ;   in Loop: Header=BB48_7 Depth=2
	s_or_b32 exec_lo, exec_lo, s12
	s_waitcnt vmcnt(0) lgkmcnt(0)
	ds_write_b64 v14, v[5:6]
	s_waitcnt lgkmcnt(0)
	s_barrier
	buffer_gl0_inv
	s_and_saveexec_b32 s2, s5
	s_cbranch_execz .LBB48_6
; %bb.12:                               ;   in Loop: Header=BB48_7 Depth=2
	flat_load_dwordx2 v[5:6], v[3:4]
	ds_read2_b64 v[7:10], v12 offset1:32
	ds_read_b128 v[22:25], v11
	ds_read_b128 v[26:29], v11 offset:16
	ds_read2_b64 v[30:33], v12 offset0:64 offset1:96
	ds_read2_b64 v[34:37], v12 offset0:128 offset1:160
	ds_read_b128 v[38:41], v11 offset:32
	ds_read_b128 v[42:45], v11 offset:48
	ds_read2_b64 v[46:49], v12 offset0:192 offset1:224
	ds_read2_b64 v[50:53], v15 offset1:32
	ds_read_b128 v[54:57], v11 offset:64
	ds_read_b128 v[58:61], v11 offset:80
	s_waitcnt lgkmcnt(9)
	v_mul_f32_e32 v62, v8, v23
	v_mul_f32_e32 v63, v7, v23
	;; [unrolled: 1-line block ×3, first 2 shown]
	s_waitcnt lgkmcnt(7)
	v_mul_f32_e32 v66, v30, v27
	v_mul_f32_e32 v23, v10, v25
	v_fma_f32 v62, v7, v22, -v62
	v_fmac_f32_e32 v63, v8, v22
	v_mul_f32_e32 v22, v31, v27
	s_waitcnt lgkmcnt(5)
	v_mul_f32_e32 v27, v35, v39
	v_fmac_f32_e32 v64, v10, v24
	v_mul_f32_e32 v68, v34, v39
	v_fma_f32 v65, v9, v24, -v23
	ds_read2_b64 v[7:10], v15 offset0:64 offset1:96
	v_fma_f32 v72, v34, v38, -v27
	v_add_f32_e32 v34, 0, v63
	v_fmac_f32_e32 v68, v35, v38
	s_waitcnt lgkmcnt(4)
	v_mul_f32_e32 v35, v47, v43
	v_mul_f32_e32 v63, v46, v43
	;; [unrolled: 1-line block ×3, first 2 shown]
	v_add_f32_e32 v38, v34, v64
	v_add_f32_e32 v34, 0, v62
	v_mul_f32_e32 v67, v32, v29
	v_mul_f32_e32 v29, v37, v41
	v_fma_f32 v69, v30, v26, -v22
	v_fmac_f32_e32 v66, v31, v26
	v_fma_f32 v62, v46, v42, -v35
	v_fmac_f32_e32 v63, v47, v42
	v_add_f32_e32 v42, v34, v65
	v_fma_f32 v70, v32, v28, -v23
	v_fmac_f32_e32 v67, v33, v28
	v_mul_f32_e32 v71, v36, v41
	v_fma_f32 v73, v36, v40, -v29
	v_mul_f32_e32 v36, v49, v45
	v_mul_f32_e32 v64, v48, v45
	v_add_f32_e32 v43, v38, v66
	v_add_f32_e32 v42, v42, v69
	ds_read2_b64 v[22:25], v15 offset0:128 offset1:160
	v_fma_f32 v74, v48, v44, -v36
	v_fmac_f32_e32 v64, v49, v44
	s_waitcnt lgkmcnt(3)
	v_mul_f32_e32 v44, v51, v55
	v_mul_f32_e32 v55, v50, v55
	v_add_f32_e32 v43, v43, v67
	v_mul_f32_e32 v45, v53, v57
	v_mul_f32_e32 v57, v52, v57
	v_add_f32_e32 v42, v42, v70
	ds_read_b128 v[26:29], v11 offset:96
	ds_read_b128 v[30:33], v11 offset:112
	v_fmac_f32_e32 v71, v37, v40
	ds_read2_b64 v[34:37], v15 offset0:192 offset1:224
	s_waitcnt lgkmcnt(4)
	v_mul_f32_e32 v65, v8, v59
	v_add_f32_e32 v43, v43, v68
	v_mul_f32_e32 v59, v7, v59
	v_fma_f32 v66, v50, v54, -v44
	v_fmac_f32_e32 v55, v51, v54
	v_fma_f32 v54, v52, v56, -v45
	v_fmac_f32_e32 v57, v53, v56
	v_mul_f32_e32 v50, v10, v61
	v_mul_f32_e32 v56, v9, v61
	v_add_f32_e32 v51, v42, v72
	v_add_f32_e32 v52, v43, v71
	v_fma_f32 v61, v7, v58, -v65
	v_fmac_f32_e32 v59, v8, v58
	v_fma_f32 v58, v9, v60, -v50
	v_fmac_f32_e32 v56, v10, v60
	v_add_f32_e32 v60, v51, v73
	ds_read2_b64 v[38:41], v16 offset1:32
	v_add_f32_e32 v63, v52, v63
	ds_read_b128 v[42:45], v11 offset:128
	ds_read_b128 v[46:49], v11 offset:144
	s_waitcnt lgkmcnt(5)
	v_mul_f32_e32 v65, v23, v27
	v_add_f32_e32 v60, v60, v62
	v_mul_f32_e32 v62, v22, v27
	v_add_f32_e32 v27, v63, v64
	v_mul_f32_e32 v63, v25, v29
	v_mul_f32_e32 v64, v24, v29
	v_add_f32_e32 v29, v60, v74
	ds_read2_b64 v[7:10], v16 offset0:64 offset1:96
	s_waitcnt lgkmcnt(4)
	v_mul_f32_e32 v60, v35, v31
	v_add_f32_e32 v27, v27, v55
	v_mul_f32_e32 v55, v34, v31
	v_add_f32_e32 v66, v29, v66
	ds_read2_b64 v[50:53], v16 offset0:128 offset1:160
	v_fma_f32 v60, v34, v30, -v60
	v_add_f32_e32 v57, v27, v57
	v_fmac_f32_e32 v55, v35, v30
	v_add_f32_e32 v34, v66, v54
	v_fma_f32 v65, v22, v26, -v65
	s_waitcnt lgkmcnt(3)
	v_mul_f32_e32 v69, v39, v43
	v_add_f32_e32 v35, v57, v59
	v_mul_f32_e32 v54, v38, v43
	v_mul_f32_e32 v43, v41, v45
	;; [unrolled: 1-line block ×3, first 2 shown]
	v_add_f32_e32 v45, v34, v61
	v_fmac_f32_e32 v62, v23, v26
	v_add_f32_e32 v56, v35, v56
	v_fma_f32 v63, v24, v28, -v63
	v_fmac_f32_e32 v64, v25, v28
	v_add_f32_e32 v58, v45, v58
	ds_read_b128 v[22:25], v11 offset:160
	ds_read_b128 v[26:29], v11 offset:176
	v_add_f32_e32 v56, v56, v62
	s_waitcnt lgkmcnt(3)
	v_mul_f32_e32 v62, v8, v47
	v_mul_f32_e32 v66, v7, v47
	v_add_f32_e32 v47, v58, v65
	v_mul_f32_e32 v31, v37, v33
	v_mul_f32_e32 v67, v36, v33
	v_add_f32_e32 v56, v56, v64
	v_fma_f32 v62, v7, v46, -v62
	v_fmac_f32_e32 v66, v8, v46
	v_add_f32_e32 v46, v47, v63
	v_fma_f32 v68, v36, v32, -v31
	v_fmac_f32_e32 v67, v37, v32
	v_add_f32_e32 v55, v56, v55
	ds_read2_b64 v[30:33], v16 offset0:192 offset1:224
	v_add_f32_e32 v56, v46, v60
	v_fma_f32 v59, v38, v42, -v69
	v_fmac_f32_e32 v54, v39, v42
	v_fma_f32 v61, v40, v44, -v43
	s_waitcnt lgkmcnt(2)
	v_mul_f32_e32 v60, v51, v23
	v_mul_f32_e32 v63, v50, v23
	v_add_f32_e32 v23, v55, v67
	v_add_f32_e32 v55, v56, v68
	v_fmac_f32_e32 v57, v41, v44
	v_mul_f32_e32 v56, v53, v25
	v_mul_f32_e32 v65, v52, v25
	v_add_f32_e32 v23, v23, v54
	v_add_f32_e32 v25, v55, v59
	v_mul_f32_e32 v58, v10, v49
	v_mul_f32_e32 v64, v9, v49
	ds_read2_b64 v[34:37], v19 offset1:32
	v_add_f32_e32 v67, v23, v57
	v_add_f32_e32 v61, v25, v61
	v_fma_f32 v58, v9, v48, -v58
	v_fmac_f32_e32 v64, v10, v48
	ds_read_b128 v[38:41], v11 offset:192
	ds_read_b128 v[42:45], v11 offset:208
	v_add_f32_e32 v66, v67, v66
	v_add_f32_e32 v61, v61, v62
	v_fma_f32 v60, v50, v22, -v60
	v_fmac_f32_e32 v63, v51, v22
	s_waitcnt lgkmcnt(3)
	v_mul_f32_e32 v67, v31, v27
	v_mul_f32_e32 v27, v30, v27
	v_mul_f32_e32 v62, v33, v29
	v_add_f32_e32 v64, v66, v64
	v_mul_f32_e32 v29, v32, v29
	v_add_f32_e32 v58, v61, v58
	ds_read2_b64 v[7:10], v19 offset0:64 offset1:96
	v_fma_f32 v59, v52, v24, -v56
	v_fmac_f32_e32 v65, v53, v24
	v_fma_f32 v30, v30, v26, -v67
	v_fmac_f32_e32 v27, v31, v26
	;; [unrolled: 2-line block ×3, first 2 shown]
	v_add_f32_e32 v32, v64, v63
	v_add_f32_e32 v33, v58, v60
	ds_read2_b64 v[46:49], v19 offset0:128 offset1:160
	s_waitcnt lgkmcnt(3)
	v_mul_f32_e32 v61, v35, v39
	v_mul_f32_e32 v28, v34, v39
	v_add_f32_e32 v32, v32, v65
	v_add_f32_e32 v33, v33, v59
	ds_read_b128 v[22:25], v11 offset:224
	ds_read_b128 v[50:53], v11 offset:240
	ds_read2_b64 v[54:57], v19 offset0:192 offset1:224
	v_mul_f32_e32 v31, v37, v41
	v_mul_f32_e32 v39, v36, v41
	v_add_f32_e32 v27, v32, v27
	v_add_f32_e32 v30, v33, v30
	v_fmac_f32_e32 v28, v35, v38
	v_fma_f32 v32, v34, v38, -v61
	s_waitcnt lgkmcnt(4)
	v_mul_f32_e32 v41, v8, v43
	v_add_f32_e32 v27, v27, v29
	v_add_f32_e32 v26, v30, v26
	v_mul_f32_e32 v43, v7, v43
	v_fma_f32 v30, v36, v40, -v31
	v_fmac_f32_e32 v39, v37, v40
	v_add_f32_e32 v27, v27, v28
	v_add_f32_e32 v26, v26, v32
	v_mul_f32_e32 v58, v10, v45
	v_mul_f32_e32 v45, v9, v45
	v_fma_f32 v7, v7, v42, -v41
	v_fmac_f32_e32 v43, v8, v42
	v_add_f32_e32 v8, v27, v39
	v_add_f32_e32 v26, v26, v30
	s_waitcnt lgkmcnt(2)
	v_mul_f32_e32 v59, v47, v23
	v_mul_f32_e32 v23, v46, v23
	v_fma_f32 v9, v9, v44, -v58
	v_fmac_f32_e32 v45, v10, v44
	v_add_f32_e32 v8, v8, v43
	v_add_f32_e32 v7, v26, v7
	v_mul_f32_e32 v29, v49, v25
	v_mul_f32_e32 v25, v48, v25
	v_fma_f32 v26, v46, v22, -v59
	v_fmac_f32_e32 v23, v47, v22
	v_add_f32_e32 v8, v8, v45
	v_add_f32_e32 v7, v7, v9
	s_waitcnt lgkmcnt(0)
	v_mul_f32_e32 v27, v55, v51
	v_mul_f32_e32 v10, v54, v51
	v_fma_f32 v22, v48, v24, -v29
	v_fmac_f32_e32 v25, v49, v24
	v_add_f32_e32 v8, v8, v23
	v_add_f32_e32 v7, v7, v26
	v_mul_f32_e32 v9, v57, v53
	v_mul_f32_e32 v23, v56, v53
	v_fma_f32 v24, v54, v50, -v27
	v_fmac_f32_e32 v10, v55, v50
	v_add_f32_e32 v8, v8, v25
	v_add_f32_e32 v7, v7, v22
	v_fma_f32 v9, v56, v52, -v9
	v_fmac_f32_e32 v23, v57, v52
	v_add_f32_e32 v8, v8, v10
	v_add_f32_e32 v7, v7, v24
	;; [unrolled: 1-line block ×4, first 2 shown]
	v_mul_f32_e32 v9, s18, v8
	v_mul_f32_e32 v10, s18, v7
	v_fma_f32 v7, s15, v7, -v9
	v_fmac_f32_e32 v10, s15, v8
	s_waitcnt vmcnt(0)
	v_add_f32_e32 v5, v5, v7
	v_add_f32_e32 v6, v6, v10
	flat_store_dwordx2 v[3:4], v[5:6]
	s_branch .LBB48_6
.LBB48_13:
	s_endpgm
	.section	.rodata,"a",@progbits
	.p2align	6, 0x0
	.amdhsa_kernel _ZL24rocblas_symm_hemm_kernelILb0ELb0ELi32E19rocblas_complex_numIfEPKPKS1_PKPS1_EvbiiT2_T3_lllSA_lllT4_llli
		.amdhsa_group_segment_fixed_size 16384
		.amdhsa_private_segment_fixed_size 0
		.amdhsa_kernarg_size 384
		.amdhsa_user_sgpr_count 6
		.amdhsa_user_sgpr_private_segment_buffer 1
		.amdhsa_user_sgpr_dispatch_ptr 0
		.amdhsa_user_sgpr_queue_ptr 0
		.amdhsa_user_sgpr_kernarg_segment_ptr 1
		.amdhsa_user_sgpr_dispatch_id 0
		.amdhsa_user_sgpr_flat_scratch_init 0
		.amdhsa_user_sgpr_private_segment_size 0
		.amdhsa_wavefront_size32 1
		.amdhsa_uses_dynamic_stack 0
		.amdhsa_system_sgpr_private_segment_wavefront_offset 0
		.amdhsa_system_sgpr_workgroup_id_x 1
		.amdhsa_system_sgpr_workgroup_id_y 1
		.amdhsa_system_sgpr_workgroup_id_z 1
		.amdhsa_system_sgpr_workgroup_info 0
		.amdhsa_system_vgpr_workitem_id 1
		.amdhsa_next_free_vgpr 75
		.amdhsa_next_free_sgpr 28
		.amdhsa_reserve_vcc 1
		.amdhsa_reserve_flat_scratch 0
		.amdhsa_float_round_mode_32 0
		.amdhsa_float_round_mode_16_64 0
		.amdhsa_float_denorm_mode_32 3
		.amdhsa_float_denorm_mode_16_64 3
		.amdhsa_dx10_clamp 1
		.amdhsa_ieee_mode 1
		.amdhsa_fp16_overflow 0
		.amdhsa_workgroup_processor_mode 1
		.amdhsa_memory_ordered 1
		.amdhsa_forward_progress 1
		.amdhsa_shared_vgpr_count 0
		.amdhsa_exception_fp_ieee_invalid_op 0
		.amdhsa_exception_fp_denorm_src 0
		.amdhsa_exception_fp_ieee_div_zero 0
		.amdhsa_exception_fp_ieee_overflow 0
		.amdhsa_exception_fp_ieee_underflow 0
		.amdhsa_exception_fp_ieee_inexact 0
		.amdhsa_exception_int_div_zero 0
	.end_amdhsa_kernel
	.section	.text._ZL24rocblas_symm_hemm_kernelILb0ELb0ELi32E19rocblas_complex_numIfEPKPKS1_PKPS1_EvbiiT2_T3_lllSA_lllT4_llli,"axG",@progbits,_ZL24rocblas_symm_hemm_kernelILb0ELb0ELi32E19rocblas_complex_numIfEPKPKS1_PKPS1_EvbiiT2_T3_lllSA_lllT4_llli,comdat
.Lfunc_end48:
	.size	_ZL24rocblas_symm_hemm_kernelILb0ELb0ELi32E19rocblas_complex_numIfEPKPKS1_PKPS1_EvbiiT2_T3_lllSA_lllT4_llli, .Lfunc_end48-_ZL24rocblas_symm_hemm_kernelILb0ELb0ELi32E19rocblas_complex_numIfEPKPKS1_PKPS1_EvbiiT2_T3_lllSA_lllT4_llli
                                        ; -- End function
	.set _ZL24rocblas_symm_hemm_kernelILb0ELb0ELi32E19rocblas_complex_numIfEPKPKS1_PKPS1_EvbiiT2_T3_lllSA_lllT4_llli.num_vgpr, 75
	.set _ZL24rocblas_symm_hemm_kernelILb0ELb0ELi32E19rocblas_complex_numIfEPKPKS1_PKPS1_EvbiiT2_T3_lllSA_lllT4_llli.num_agpr, 0
	.set _ZL24rocblas_symm_hemm_kernelILb0ELb0ELi32E19rocblas_complex_numIfEPKPKS1_PKPS1_EvbiiT2_T3_lllSA_lllT4_llli.numbered_sgpr, 28
	.set _ZL24rocblas_symm_hemm_kernelILb0ELb0ELi32E19rocblas_complex_numIfEPKPKS1_PKPS1_EvbiiT2_T3_lllSA_lllT4_llli.num_named_barrier, 0
	.set _ZL24rocblas_symm_hemm_kernelILb0ELb0ELi32E19rocblas_complex_numIfEPKPKS1_PKPS1_EvbiiT2_T3_lllSA_lllT4_llli.private_seg_size, 0
	.set _ZL24rocblas_symm_hemm_kernelILb0ELb0ELi32E19rocblas_complex_numIfEPKPKS1_PKPS1_EvbiiT2_T3_lllSA_lllT4_llli.uses_vcc, 1
	.set _ZL24rocblas_symm_hemm_kernelILb0ELb0ELi32E19rocblas_complex_numIfEPKPKS1_PKPS1_EvbiiT2_T3_lllSA_lllT4_llli.uses_flat_scratch, 0
	.set _ZL24rocblas_symm_hemm_kernelILb0ELb0ELi32E19rocblas_complex_numIfEPKPKS1_PKPS1_EvbiiT2_T3_lllSA_lllT4_llli.has_dyn_sized_stack, 0
	.set _ZL24rocblas_symm_hemm_kernelILb0ELb0ELi32E19rocblas_complex_numIfEPKPKS1_PKPS1_EvbiiT2_T3_lllSA_lllT4_llli.has_recursion, 0
	.set _ZL24rocblas_symm_hemm_kernelILb0ELb0ELi32E19rocblas_complex_numIfEPKPKS1_PKPS1_EvbiiT2_T3_lllSA_lllT4_llli.has_indirect_call, 0
	.section	.AMDGPU.csdata,"",@progbits
; Kernel info:
; codeLenInByte = 2120
; TotalNumSgprs: 30
; NumVgprs: 75
; ScratchSize: 0
; MemoryBound: 0
; FloatMode: 240
; IeeeMode: 1
; LDSByteSize: 16384 bytes/workgroup (compile time only)
; SGPRBlocks: 0
; VGPRBlocks: 9
; NumSGPRsForWavesPerEU: 30
; NumVGPRsForWavesPerEU: 75
; Occupancy: 12
; WaveLimiterHint : 1
; COMPUTE_PGM_RSRC2:SCRATCH_EN: 0
; COMPUTE_PGM_RSRC2:USER_SGPR: 6
; COMPUTE_PGM_RSRC2:TRAP_HANDLER: 0
; COMPUTE_PGM_RSRC2:TGID_X_EN: 1
; COMPUTE_PGM_RSRC2:TGID_Y_EN: 1
; COMPUTE_PGM_RSRC2:TGID_Z_EN: 1
; COMPUTE_PGM_RSRC2:TIDIG_COMP_CNT: 1
	.section	.text._ZL24rocblas_symm_hemm_kernelILb0ELb1ELi32E19rocblas_complex_numIfEPKPKS1_PKPS1_EvbiiT2_T3_lllSA_lllT4_llli,"axG",@progbits,_ZL24rocblas_symm_hemm_kernelILb0ELb1ELi32E19rocblas_complex_numIfEPKPKS1_PKPS1_EvbiiT2_T3_lllSA_lllT4_llli,comdat
	.globl	_ZL24rocblas_symm_hemm_kernelILb0ELb1ELi32E19rocblas_complex_numIfEPKPKS1_PKPS1_EvbiiT2_T3_lllSA_lllT4_llli ; -- Begin function _ZL24rocblas_symm_hemm_kernelILb0ELb1ELi32E19rocblas_complex_numIfEPKPKS1_PKPS1_EvbiiT2_T3_lllSA_lllT4_llli
	.p2align	8
	.type	_ZL24rocblas_symm_hemm_kernelILb0ELb1ELi32E19rocblas_complex_numIfEPKPKS1_PKPS1_EvbiiT2_T3_lllSA_lllT4_llli,@function
_ZL24rocblas_symm_hemm_kernelILb0ELb1ELi32E19rocblas_complex_numIfEPKPKS1_PKPS1_EvbiiT2_T3_lllSA_lllT4_llli: ; @_ZL24rocblas_symm_hemm_kernelILb0ELb1ELi32E19rocblas_complex_numIfEPKPKS1_PKPS1_EvbiiT2_T3_lllSA_lllT4_llli
; %bb.0:
	s_clause 0x1
	s_load_dwordx4 s[12:15], s[4:5], 0x0
	s_load_dword s20, s[4:5], 0x10
	s_waitcnt lgkmcnt(0)
	v_cmp_eq_f32_e64 s0, s15, 0
	v_cmp_eq_f32_e64 s1, s20, 0
	s_and_b32 s0, s0, s1
	s_and_b32 vcc_lo, exec_lo, s0
	s_cbranch_vccnz .LBB49_13
; %bb.1:
	s_add_i32 s0, s14, -1
	s_ashr_i32 s1, s0, 31
	s_lshr_b32 s1, s1, 27
	s_add_i32 s0, s0, s1
	s_ashr_i32 s21, s0, 5
	s_cmp_gt_i32 s7, s21
	s_cbranch_scc1 .LBB49_13
; %bb.2:
	s_clause 0x1
	s_load_dwordx4 s[24:27], s[4:5], 0x18
	s_load_dwordx2 s[16:17], s[4:5], 0x28
	s_mov_b32 s9, 0
	v_lshl_add_u32 v2, s6, 5, v0
	s_lshl_b64 s[28:29], s[8:9], 3
	s_load_dwordx2 s[18:19], s[4:5], 0x48
	v_lshlrev_b32_e32 v4, 3, v1
	v_lshlrev_b32_e32 v10, 8, v0
	v_ashrrev_i32_e32 v3, 31, v2
	v_or_b32_e32 v11, 0x2000, v4
	v_add_nc_u32_e32 v12, v10, v4
	v_add_nc_u32_e32 v13, v11, v10
	;; [unrolled: 1-line block ×5, first 2 shown]
	s_waitcnt lgkmcnt(0)
	s_add_u32 s0, s24, s28
	s_addc_u32 s1, s25, s29
	s_lshl_b64 s[24:25], s[26:27], 3
	s_load_dwordx2 s[22:23], s[0:1], 0x0
	s_clause 0x1
	s_load_dwordx4 s[0:3], s[4:5], 0x38
	s_load_dwordx4 s[8:11], s[4:5], 0x58
	s_waitcnt lgkmcnt(0)
	s_add_u32 s22, s22, s24
	s_addc_u32 s23, s23, s25
	s_add_u32 s0, s0, s28
	s_addc_u32 s1, s1, s29
	;; [unrolled: 2-line block ×3, first 2 shown]
	s_load_dwordx2 s[26:27], s[0:1], 0x0
	s_load_dwordx2 s[24:25], s[8:9], 0x0
	s_clause 0x1
	s_load_dwordx2 s[8:9], s[4:5], 0x68
	s_load_dword s4, s[4:5], 0x84
	s_bitcmp1_b32 s12, 0
	v_cmp_gt_i32_e64 s0, s13, v2
	v_lshlrev_b64 v[2:3], 3, v[2:3]
	s_cselect_b32 s1, -1, 0
	s_lshl_b64 s[10:11], s[10:11], 3
	s_waitcnt lgkmcnt(0)
	s_add_u32 s5, s24, s10
	s_addc_u32 s6, s25, s11
	s_lshl_b64 s[2:3], s[2:3], 3
	v_add_co_u32 v16, vcc_lo, s5, v2
	s_add_u32 s2, s26, s2
	v_add_co_ci_u32_e64 v17, null, s6, v3, vcc_lo
	s_addc_u32 s3, s27, s3
	v_add_co_u32 v18, vcc_lo, s2, v2
	v_add_co_ci_u32_e64 v19, null, s3, v3, vcc_lo
	s_cmp_gt_i32 s14, 0
	s_cselect_b32 s3, -1, 0
	s_branch .LBB49_4
.LBB49_3:                               ;   in Loop: Header=BB49_4 Depth=1
	s_add_i32 s7, s7, s4
	s_cmp_gt_i32 s7, s21
	s_cbranch_scc1 .LBB49_13
.LBB49_4:                               ; =>This Loop Header: Depth=1
                                        ;     Child Loop BB49_7 Depth 2
	s_andn2_b32 vcc_lo, exec_lo, s3
	s_cbranch_vccnz .LBB49_3
; %bb.5:                                ;   in Loop: Header=BB49_4 Depth=1
	v_lshl_add_u32 v21, s7, 5, v1
	s_mov_b32 s5, 0
	v_ashrrev_i32_e32 v4, 31, v21
	v_mul_lo_u32 v5, s9, v21
	v_mad_u64_u32 v[2:3], null, s8, v21, 0
	v_cmp_gt_i32_e32 vcc_lo, s14, v21
	v_mul_lo_u32 v4, s8, v4
	v_add3_u32 v3, v3, v4, v5
	v_lshlrev_b64 v[2:3], 3, v[2:3]
	v_add_co_u32 v2, s2, v16, v2
	v_add_co_ci_u32_e64 v3, null, v17, v3, s2
	s_and_b32 s2, s0, vcc_lo
	s_branch .LBB49_7
.LBB49_6:                               ;   in Loop: Header=BB49_7 Depth=2
	s_or_b32 exec_lo, exec_lo, s6
	s_add_i32 s5, s5, 32
	s_waitcnt lgkmcnt(0)
	s_waitcnt_vscnt null, 0x0
	s_cmp_ge_i32 s5, s14
	s_barrier
	buffer_gl0_inv
	s_cbranch_scc1 .LBB49_3
.LBB49_7:                               ;   Parent Loop BB49_4 Depth=1
                                        ; =>  This Inner Loop Header: Depth=2
	v_add_nc_u32_e32 v5, s5, v1
	v_mov_b32_e32 v4, 0
	v_mov_b32_e32 v6, 0
	;; [unrolled: 1-line block ×3, first 2 shown]
	v_cmp_gt_i32_e32 vcc_lo, s14, v5
	s_and_b32 s10, s0, vcc_lo
	s_and_saveexec_b32 s6, s10
	s_cbranch_execz .LBB49_9
; %bb.8:                                ;   in Loop: Header=BB49_7 Depth=2
	v_ashrrev_i32_e32 v7, 31, v5
	v_mul_lo_u32 v8, s19, v5
	v_mad_u64_u32 v[5:6], null, s18, v5, 0
	v_mul_lo_u32 v7, s18, v7
	v_add3_u32 v6, v6, v7, v8
	v_lshlrev_b64 v[5:6], 3, v[5:6]
	v_add_co_u32 v5, vcc_lo, v18, v5
	v_add_co_ci_u32_e64 v6, null, v19, v6, vcc_lo
	flat_load_dwordx2 v[6:7], v[5:6]
.LBB49_9:                               ;   in Loop: Header=BB49_7 Depth=2
	s_or_b32 exec_lo, exec_lo, s6
	v_add_nc_u32_e32 v5, s5, v0
	s_waitcnt vmcnt(0) lgkmcnt(0)
	ds_write_b64 v12, v[6:7]
	v_cndmask_b32_e64 v8, v21, v5, s1
	v_cndmask_b32_e64 v9, v5, v21, s1
	v_cmp_gt_i32_e32 vcc_lo, v8, v9
	v_cndmask_b32_e32 v8, v5, v21, vcc_lo
	v_cndmask_b32_e32 v9, v21, v5, vcc_lo
	v_max_i32_e32 v5, v8, v9
	v_cmp_gt_i32_e32 vcc_lo, s14, v5
	v_mov_b32_e32 v5, 0
	s_and_saveexec_b32 s6, vcc_lo
	s_cbranch_execz .LBB49_11
; %bb.10:                               ;   in Loop: Header=BB49_7 Depth=2
	v_ashrrev_i32_e32 v6, 31, v9
	v_mul_lo_u32 v7, s17, v9
	v_mad_u64_u32 v[4:5], null, s16, v9, 0
	v_ashrrev_i32_e32 v9, 31, v8
	v_mul_lo_u32 v6, s16, v6
	v_add3_u32 v5, v5, v6, v7
	v_lshlrev_b64 v[6:7], 3, v[8:9]
	v_lshlrev_b64 v[4:5], 3, v[4:5]
	v_add_co_u32 v4, vcc_lo, s22, v4
	v_add_co_ci_u32_e64 v5, null, s23, v5, vcc_lo
	v_add_co_u32 v4, vcc_lo, v4, v6
	v_add_co_ci_u32_e64 v5, null, v5, v7, vcc_lo
	flat_load_dwordx2 v[4:5], v[4:5]
.LBB49_11:                              ;   in Loop: Header=BB49_7 Depth=2
	s_or_b32 exec_lo, exec_lo, s6
	s_waitcnt vmcnt(0) lgkmcnt(0)
	ds_write_b64 v13, v[4:5]
	s_waitcnt lgkmcnt(0)
	s_barrier
	buffer_gl0_inv
	s_and_saveexec_b32 s6, s2
	s_cbranch_execz .LBB49_6
; %bb.12:                               ;   in Loop: Header=BB49_7 Depth=2
	flat_load_dwordx2 v[4:5], v[2:3]
	ds_read2_b64 v[6:9], v11 offset1:32
	ds_read_b128 v[22:25], v10
	ds_read_b128 v[26:29], v10 offset:16
	ds_read2_b64 v[30:33], v11 offset0:64 offset1:96
	ds_read2_b64 v[34:37], v11 offset0:128 offset1:160
	ds_read_b128 v[38:41], v10 offset:32
	ds_read_b128 v[42:45], v10 offset:48
	ds_read2_b64 v[46:49], v11 offset0:192 offset1:224
	ds_read2_b64 v[50:53], v14 offset1:32
	ds_read_b128 v[54:57], v10 offset:64
	ds_read_b128 v[58:61], v10 offset:80
	s_waitcnt lgkmcnt(9)
	v_mul_f32_e32 v62, v7, v23
	v_mul_f32_e32 v63, v6, v23
	;; [unrolled: 1-line block ×3, first 2 shown]
	s_waitcnt lgkmcnt(7)
	v_mul_f32_e32 v66, v30, v27
	v_mul_f32_e32 v23, v9, v25
	v_fma_f32 v62, v6, v22, -v62
	v_fmac_f32_e32 v63, v7, v22
	v_mul_f32_e32 v22, v31, v27
	s_waitcnt lgkmcnt(5)
	v_mul_f32_e32 v27, v35, v39
	v_fmac_f32_e32 v64, v9, v24
	v_mul_f32_e32 v68, v34, v39
	v_fma_f32 v65, v8, v24, -v23
	ds_read2_b64 v[6:9], v14 offset0:64 offset1:96
	v_fma_f32 v72, v34, v38, -v27
	v_add_f32_e32 v34, 0, v63
	v_fmac_f32_e32 v68, v35, v38
	s_waitcnt lgkmcnt(4)
	v_mul_f32_e32 v35, v47, v43
	v_mul_f32_e32 v63, v46, v43
	;; [unrolled: 1-line block ×3, first 2 shown]
	v_add_f32_e32 v38, v34, v64
	v_add_f32_e32 v34, 0, v62
	v_mul_f32_e32 v67, v32, v29
	v_mul_f32_e32 v29, v37, v41
	v_fma_f32 v69, v30, v26, -v22
	v_fmac_f32_e32 v66, v31, v26
	v_fma_f32 v62, v46, v42, -v35
	v_fmac_f32_e32 v63, v47, v42
	v_add_f32_e32 v42, v34, v65
	v_fma_f32 v70, v32, v28, -v23
	v_fmac_f32_e32 v67, v33, v28
	v_mul_f32_e32 v71, v36, v41
	v_fma_f32 v73, v36, v40, -v29
	v_mul_f32_e32 v36, v49, v45
	v_mul_f32_e32 v64, v48, v45
	v_add_f32_e32 v43, v38, v66
	v_add_f32_e32 v42, v42, v69
	ds_read2_b64 v[22:25], v14 offset0:128 offset1:160
	v_fma_f32 v74, v48, v44, -v36
	v_fmac_f32_e32 v64, v49, v44
	s_waitcnt lgkmcnt(3)
	v_mul_f32_e32 v44, v51, v55
	v_mul_f32_e32 v55, v50, v55
	v_add_f32_e32 v43, v43, v67
	v_mul_f32_e32 v45, v53, v57
	v_mul_f32_e32 v57, v52, v57
	v_add_f32_e32 v42, v42, v70
	ds_read_b128 v[26:29], v10 offset:96
	ds_read_b128 v[30:33], v10 offset:112
	v_fmac_f32_e32 v71, v37, v40
	ds_read2_b64 v[34:37], v14 offset0:192 offset1:224
	s_waitcnt lgkmcnt(4)
	v_mul_f32_e32 v65, v7, v59
	v_add_f32_e32 v43, v43, v68
	v_mul_f32_e32 v59, v6, v59
	v_fma_f32 v66, v50, v54, -v44
	v_fmac_f32_e32 v55, v51, v54
	v_fma_f32 v54, v52, v56, -v45
	v_fmac_f32_e32 v57, v53, v56
	v_mul_f32_e32 v50, v9, v61
	v_mul_f32_e32 v56, v8, v61
	v_add_f32_e32 v51, v42, v72
	v_add_f32_e32 v52, v43, v71
	v_fma_f32 v61, v6, v58, -v65
	v_fmac_f32_e32 v59, v7, v58
	v_fma_f32 v58, v8, v60, -v50
	v_fmac_f32_e32 v56, v9, v60
	v_add_f32_e32 v60, v51, v73
	ds_read2_b64 v[38:41], v15 offset1:32
	v_add_f32_e32 v63, v52, v63
	ds_read_b128 v[42:45], v10 offset:128
	ds_read_b128 v[46:49], v10 offset:144
	s_waitcnt lgkmcnt(5)
	v_mul_f32_e32 v65, v23, v27
	v_add_f32_e32 v60, v60, v62
	v_mul_f32_e32 v62, v22, v27
	v_add_f32_e32 v27, v63, v64
	v_mul_f32_e32 v63, v25, v29
	v_mul_f32_e32 v64, v24, v29
	v_add_f32_e32 v29, v60, v74
	ds_read2_b64 v[6:9], v15 offset0:64 offset1:96
	s_waitcnt lgkmcnt(4)
	v_mul_f32_e32 v60, v35, v31
	v_add_f32_e32 v27, v27, v55
	v_mul_f32_e32 v55, v34, v31
	v_add_f32_e32 v66, v29, v66
	ds_read2_b64 v[50:53], v15 offset0:128 offset1:160
	v_fma_f32 v60, v34, v30, -v60
	v_add_f32_e32 v57, v27, v57
	v_fmac_f32_e32 v55, v35, v30
	v_add_f32_e32 v34, v66, v54
	v_fma_f32 v65, v22, v26, -v65
	s_waitcnt lgkmcnt(3)
	v_mul_f32_e32 v69, v39, v43
	v_add_f32_e32 v35, v57, v59
	v_mul_f32_e32 v54, v38, v43
	v_mul_f32_e32 v43, v41, v45
	;; [unrolled: 1-line block ×3, first 2 shown]
	v_add_f32_e32 v45, v34, v61
	v_fmac_f32_e32 v62, v23, v26
	v_add_f32_e32 v56, v35, v56
	v_fma_f32 v63, v24, v28, -v63
	v_fmac_f32_e32 v64, v25, v28
	v_add_f32_e32 v58, v45, v58
	ds_read_b128 v[22:25], v10 offset:160
	ds_read_b128 v[26:29], v10 offset:176
	v_add_f32_e32 v56, v56, v62
	s_waitcnt lgkmcnt(3)
	v_mul_f32_e32 v62, v7, v47
	v_mul_f32_e32 v66, v6, v47
	v_add_f32_e32 v47, v58, v65
	v_mul_f32_e32 v31, v37, v33
	v_mul_f32_e32 v67, v36, v33
	v_add_f32_e32 v56, v56, v64
	v_fma_f32 v62, v6, v46, -v62
	v_fmac_f32_e32 v66, v7, v46
	v_add_f32_e32 v46, v47, v63
	v_fma_f32 v68, v36, v32, -v31
	v_fmac_f32_e32 v67, v37, v32
	v_add_f32_e32 v55, v56, v55
	ds_read2_b64 v[30:33], v15 offset0:192 offset1:224
	v_add_f32_e32 v56, v46, v60
	v_fma_f32 v59, v38, v42, -v69
	v_fmac_f32_e32 v54, v39, v42
	v_fma_f32 v61, v40, v44, -v43
	s_waitcnt lgkmcnt(2)
	v_mul_f32_e32 v60, v51, v23
	v_mul_f32_e32 v63, v50, v23
	v_add_f32_e32 v23, v55, v67
	v_add_f32_e32 v55, v56, v68
	v_fmac_f32_e32 v57, v41, v44
	v_mul_f32_e32 v56, v53, v25
	v_mul_f32_e32 v65, v52, v25
	v_add_f32_e32 v23, v23, v54
	v_add_f32_e32 v25, v55, v59
	v_mul_f32_e32 v58, v9, v49
	v_mul_f32_e32 v64, v8, v49
	ds_read2_b64 v[34:37], v20 offset1:32
	v_add_f32_e32 v67, v23, v57
	v_add_f32_e32 v61, v25, v61
	v_fma_f32 v58, v8, v48, -v58
	v_fmac_f32_e32 v64, v9, v48
	ds_read_b128 v[38:41], v10 offset:192
	ds_read_b128 v[42:45], v10 offset:208
	v_add_f32_e32 v66, v67, v66
	v_add_f32_e32 v61, v61, v62
	v_fma_f32 v60, v50, v22, -v60
	v_fmac_f32_e32 v63, v51, v22
	s_waitcnt lgkmcnt(3)
	v_mul_f32_e32 v67, v31, v27
	v_mul_f32_e32 v27, v30, v27
	;; [unrolled: 1-line block ×3, first 2 shown]
	v_add_f32_e32 v64, v66, v64
	v_mul_f32_e32 v29, v32, v29
	v_add_f32_e32 v58, v61, v58
	ds_read2_b64 v[6:9], v20 offset0:64 offset1:96
	v_fma_f32 v59, v52, v24, -v56
	v_fmac_f32_e32 v65, v53, v24
	v_fma_f32 v30, v30, v26, -v67
	v_fmac_f32_e32 v27, v31, v26
	;; [unrolled: 2-line block ×3, first 2 shown]
	v_add_f32_e32 v32, v64, v63
	v_add_f32_e32 v33, v58, v60
	ds_read2_b64 v[46:49], v20 offset0:128 offset1:160
	s_waitcnt lgkmcnt(3)
	v_mul_f32_e32 v61, v35, v39
	v_mul_f32_e32 v28, v34, v39
	v_add_f32_e32 v32, v32, v65
	v_add_f32_e32 v33, v33, v59
	ds_read_b128 v[22:25], v10 offset:224
	ds_read_b128 v[50:53], v10 offset:240
	ds_read2_b64 v[54:57], v20 offset0:192 offset1:224
	v_mul_f32_e32 v31, v37, v41
	v_mul_f32_e32 v39, v36, v41
	v_add_f32_e32 v27, v32, v27
	v_add_f32_e32 v30, v33, v30
	v_fmac_f32_e32 v28, v35, v38
	v_fma_f32 v32, v34, v38, -v61
	s_waitcnt lgkmcnt(4)
	v_mul_f32_e32 v41, v7, v43
	v_add_f32_e32 v27, v27, v29
	v_add_f32_e32 v26, v30, v26
	v_mul_f32_e32 v43, v6, v43
	v_fma_f32 v30, v36, v40, -v31
	v_fmac_f32_e32 v39, v37, v40
	v_add_f32_e32 v27, v27, v28
	v_add_f32_e32 v26, v26, v32
	v_mul_f32_e32 v58, v9, v45
	v_mul_f32_e32 v45, v8, v45
	v_fma_f32 v6, v6, v42, -v41
	v_fmac_f32_e32 v43, v7, v42
	v_add_f32_e32 v7, v27, v39
	v_add_f32_e32 v26, v26, v30
	s_waitcnt lgkmcnt(2)
	v_mul_f32_e32 v59, v47, v23
	v_mul_f32_e32 v23, v46, v23
	v_fma_f32 v8, v8, v44, -v58
	v_fmac_f32_e32 v45, v9, v44
	v_add_f32_e32 v7, v7, v43
	v_add_f32_e32 v6, v26, v6
	v_mul_f32_e32 v29, v49, v25
	v_mul_f32_e32 v25, v48, v25
	v_fma_f32 v26, v46, v22, -v59
	v_fmac_f32_e32 v23, v47, v22
	v_add_f32_e32 v7, v7, v45
	v_add_f32_e32 v6, v6, v8
	s_waitcnt lgkmcnt(0)
	v_mul_f32_e32 v27, v55, v51
	v_mul_f32_e32 v9, v54, v51
	v_fma_f32 v22, v48, v24, -v29
	v_fmac_f32_e32 v25, v49, v24
	v_add_f32_e32 v7, v7, v23
	v_add_f32_e32 v6, v6, v26
	v_mul_f32_e32 v8, v57, v53
	v_mul_f32_e32 v23, v56, v53
	v_fma_f32 v24, v54, v50, -v27
	v_fmac_f32_e32 v9, v55, v50
	v_add_f32_e32 v7, v7, v25
	v_add_f32_e32 v6, v6, v22
	v_fma_f32 v8, v56, v52, -v8
	v_fmac_f32_e32 v23, v57, v52
	v_add_f32_e32 v7, v7, v9
	v_add_f32_e32 v6, v6, v24
	;; [unrolled: 1-line block ×4, first 2 shown]
	v_mul_f32_e32 v8, s20, v7
	v_mul_f32_e32 v9, s20, v6
	v_fma_f32 v6, s15, v6, -v8
	v_fmac_f32_e32 v9, s15, v7
	s_waitcnt vmcnt(0)
	v_add_f32_e32 v4, v4, v6
	v_add_f32_e32 v5, v5, v9
	flat_store_dwordx2 v[2:3], v[4:5]
	s_branch .LBB49_6
.LBB49_13:
	s_endpgm
	.section	.rodata,"a",@progbits
	.p2align	6, 0x0
	.amdhsa_kernel _ZL24rocblas_symm_hemm_kernelILb0ELb1ELi32E19rocblas_complex_numIfEPKPKS1_PKPS1_EvbiiT2_T3_lllSA_lllT4_llli
		.amdhsa_group_segment_fixed_size 16384
		.amdhsa_private_segment_fixed_size 0
		.amdhsa_kernarg_size 384
		.amdhsa_user_sgpr_count 6
		.amdhsa_user_sgpr_private_segment_buffer 1
		.amdhsa_user_sgpr_dispatch_ptr 0
		.amdhsa_user_sgpr_queue_ptr 0
		.amdhsa_user_sgpr_kernarg_segment_ptr 1
		.amdhsa_user_sgpr_dispatch_id 0
		.amdhsa_user_sgpr_flat_scratch_init 0
		.amdhsa_user_sgpr_private_segment_size 0
		.amdhsa_wavefront_size32 1
		.amdhsa_uses_dynamic_stack 0
		.amdhsa_system_sgpr_private_segment_wavefront_offset 0
		.amdhsa_system_sgpr_workgroup_id_x 1
		.amdhsa_system_sgpr_workgroup_id_y 1
		.amdhsa_system_sgpr_workgroup_id_z 1
		.amdhsa_system_sgpr_workgroup_info 0
		.amdhsa_system_vgpr_workitem_id 1
		.amdhsa_next_free_vgpr 75
		.amdhsa_next_free_sgpr 30
		.amdhsa_reserve_vcc 1
		.amdhsa_reserve_flat_scratch 0
		.amdhsa_float_round_mode_32 0
		.amdhsa_float_round_mode_16_64 0
		.amdhsa_float_denorm_mode_32 3
		.amdhsa_float_denorm_mode_16_64 3
		.amdhsa_dx10_clamp 1
		.amdhsa_ieee_mode 1
		.amdhsa_fp16_overflow 0
		.amdhsa_workgroup_processor_mode 1
		.amdhsa_memory_ordered 1
		.amdhsa_forward_progress 1
		.amdhsa_shared_vgpr_count 0
		.amdhsa_exception_fp_ieee_invalid_op 0
		.amdhsa_exception_fp_denorm_src 0
		.amdhsa_exception_fp_ieee_div_zero 0
		.amdhsa_exception_fp_ieee_overflow 0
		.amdhsa_exception_fp_ieee_underflow 0
		.amdhsa_exception_fp_ieee_inexact 0
		.amdhsa_exception_int_div_zero 0
	.end_amdhsa_kernel
	.section	.text._ZL24rocblas_symm_hemm_kernelILb0ELb1ELi32E19rocblas_complex_numIfEPKPKS1_PKPS1_EvbiiT2_T3_lllSA_lllT4_llli,"axG",@progbits,_ZL24rocblas_symm_hemm_kernelILb0ELb1ELi32E19rocblas_complex_numIfEPKPKS1_PKPS1_EvbiiT2_T3_lllSA_lllT4_llli,comdat
.Lfunc_end49:
	.size	_ZL24rocblas_symm_hemm_kernelILb0ELb1ELi32E19rocblas_complex_numIfEPKPKS1_PKPS1_EvbiiT2_T3_lllSA_lllT4_llli, .Lfunc_end49-_ZL24rocblas_symm_hemm_kernelILb0ELb1ELi32E19rocblas_complex_numIfEPKPKS1_PKPS1_EvbiiT2_T3_lllSA_lllT4_llli
                                        ; -- End function
	.set _ZL24rocblas_symm_hemm_kernelILb0ELb1ELi32E19rocblas_complex_numIfEPKPKS1_PKPS1_EvbiiT2_T3_lllSA_lllT4_llli.num_vgpr, 75
	.set _ZL24rocblas_symm_hemm_kernelILb0ELb1ELi32E19rocblas_complex_numIfEPKPKS1_PKPS1_EvbiiT2_T3_lllSA_lllT4_llli.num_agpr, 0
	.set _ZL24rocblas_symm_hemm_kernelILb0ELb1ELi32E19rocblas_complex_numIfEPKPKS1_PKPS1_EvbiiT2_T3_lllSA_lllT4_llli.numbered_sgpr, 30
	.set _ZL24rocblas_symm_hemm_kernelILb0ELb1ELi32E19rocblas_complex_numIfEPKPKS1_PKPS1_EvbiiT2_T3_lllSA_lllT4_llli.num_named_barrier, 0
	.set _ZL24rocblas_symm_hemm_kernelILb0ELb1ELi32E19rocblas_complex_numIfEPKPKS1_PKPS1_EvbiiT2_T3_lllSA_lllT4_llli.private_seg_size, 0
	.set _ZL24rocblas_symm_hemm_kernelILb0ELb1ELi32E19rocblas_complex_numIfEPKPKS1_PKPS1_EvbiiT2_T3_lllSA_lllT4_llli.uses_vcc, 1
	.set _ZL24rocblas_symm_hemm_kernelILb0ELb1ELi32E19rocblas_complex_numIfEPKPKS1_PKPS1_EvbiiT2_T3_lllSA_lllT4_llli.uses_flat_scratch, 0
	.set _ZL24rocblas_symm_hemm_kernelILb0ELb1ELi32E19rocblas_complex_numIfEPKPKS1_PKPS1_EvbiiT2_T3_lllSA_lllT4_llli.has_dyn_sized_stack, 0
	.set _ZL24rocblas_symm_hemm_kernelILb0ELb1ELi32E19rocblas_complex_numIfEPKPKS1_PKPS1_EvbiiT2_T3_lllSA_lllT4_llli.has_recursion, 0
	.set _ZL24rocblas_symm_hemm_kernelILb0ELb1ELi32E19rocblas_complex_numIfEPKPKS1_PKPS1_EvbiiT2_T3_lllSA_lllT4_llli.has_indirect_call, 0
	.section	.AMDGPU.csdata,"",@progbits
; Kernel info:
; codeLenInByte = 2096
; TotalNumSgprs: 32
; NumVgprs: 75
; ScratchSize: 0
; MemoryBound: 0
; FloatMode: 240
; IeeeMode: 1
; LDSByteSize: 16384 bytes/workgroup (compile time only)
; SGPRBlocks: 0
; VGPRBlocks: 9
; NumSGPRsForWavesPerEU: 32
; NumVGPRsForWavesPerEU: 75
; Occupancy: 12
; WaveLimiterHint : 1
; COMPUTE_PGM_RSRC2:SCRATCH_EN: 0
; COMPUTE_PGM_RSRC2:USER_SGPR: 6
; COMPUTE_PGM_RSRC2:TRAP_HANDLER: 0
; COMPUTE_PGM_RSRC2:TGID_X_EN: 1
; COMPUTE_PGM_RSRC2:TGID_Y_EN: 1
; COMPUTE_PGM_RSRC2:TGID_Z_EN: 1
; COMPUTE_PGM_RSRC2:TIDIG_COMP_CNT: 1
	.section	.text._ZL25rocblas_symm_scale_kernelILi128ELi8EPK19rocblas_complex_numIdEPKPS1_EviiT1_T2_llli,"axG",@progbits,_ZL25rocblas_symm_scale_kernelILi128ELi8EPK19rocblas_complex_numIdEPKPS1_EviiT1_T2_llli,comdat
	.globl	_ZL25rocblas_symm_scale_kernelILi128ELi8EPK19rocblas_complex_numIdEPKPS1_EviiT1_T2_llli ; -- Begin function _ZL25rocblas_symm_scale_kernelILi128ELi8EPK19rocblas_complex_numIdEPKPS1_EviiT1_T2_llli
	.p2align	8
	.type	_ZL25rocblas_symm_scale_kernelILi128ELi8EPK19rocblas_complex_numIdEPKPS1_EviiT1_T2_llli,@function
_ZL25rocblas_symm_scale_kernelILi128ELi8EPK19rocblas_complex_numIdEPKPS1_EviiT1_T2_llli: ; @_ZL25rocblas_symm_scale_kernelILi128ELi8EPK19rocblas_complex_numIdEPKPS1_EviiT1_T2_llli
; %bb.0:
	s_load_dwordx8 s[12:19], s[4:5], 0x8
	s_waitcnt lgkmcnt(0)
	s_load_dwordx4 s[20:23], s[12:13], 0x0
	s_waitcnt lgkmcnt(0)
	v_cmp_eq_f64_e64 s0, s[20:21], 1.0
	v_cmp_eq_f64_e64 s1, s[22:23], 0
	s_and_b32 s0, s0, s1
	s_and_b32 vcc_lo, exec_lo, s0
	s_cbranch_vccnz .LBB50_6
; %bb.1:
	s_load_dwordx2 s[0:1], s[4:5], 0x0
	v_lshl_add_u32 v4, s7, 3, v1
	v_mov_b32_e32 v5, 0
	v_lshl_add_u32 v0, s6, 7, v0
	s_waitcnt lgkmcnt(0)
	s_ashr_i32 s3, s1, 31
	s_mov_b32 s2, s1
	v_cmp_gt_u32_e64 s0, s0, v0
	v_cmp_gt_i64_e32 vcc_lo, s[2:3], v[4:5]
	s_and_b32 s0, s0, vcc_lo
	s_and_saveexec_b32 s1, s0
	s_cbranch_execz .LBB50_6
; %bb.2:
	v_mad_u64_u32 v[2:3], null, s18, v4, 0
	s_mov_b32 s9, 0
	s_load_dword s10, s[4:5], 0x3c
	s_lshl_b64 s[0:1], s[8:9], 3
	v_cmp_neq_f64_e64 s8, s[20:21], 0
	s_add_u32 s0, s14, s0
	s_addc_u32 s1, s15, s1
	v_mov_b32_e32 v1, v3
	s_load_dwordx2 s[4:5], s[0:1], 0x0
	v_cmp_neq_f64_e64 s0, s[22:23], 0
	s_lshl_b64 s[6:7], s[16:17], 4
	v_mad_u64_u32 v[6:7], null, s19, v4, v[1:2]
	v_mov_b32_e32 v1, v5
	v_lshlrev_b64 v[0:1], 4, v[0:1]
	v_mov_b32_e32 v3, v6
	s_waitcnt lgkmcnt(0)
	s_lshl_b32 s1, s10, 3
	s_mul_i32 s10, s19, s1
	v_lshlrev_b64 v[2:3], 4, v[2:3]
	v_add_co_u32 v2, vcc_lo, v2, s6
	v_add_co_ci_u32_e64 v3, null, s7, v3, vcc_lo
	s_mul_hi_u32 s6, s18, s1
	v_add_co_u32 v0, vcc_lo, v2, v0
	v_add_co_ci_u32_e64 v1, null, v3, v1, vcc_lo
	s_add_i32 s11, s6, s10
	v_add_co_u32 v6, vcc_lo, s4, v0
	v_add_co_ci_u32_e64 v7, null, s5, v1, vcc_lo
	s_mul_i32 s10, s18, s1
	s_or_b32 s6, s8, s0
	s_lshl_b64 s[4:5], s[10:11], 4
	s_inst_prefetch 0x1
	s_branch .LBB50_4
	.p2align	6
.LBB50_3:                               ;   in Loop: Header=BB50_4 Depth=1
	v_add_co_u32 v4, vcc_lo, v4, s1
	v_add_co_ci_u32_e64 v5, null, 0, v5, vcc_lo
	flat_store_dwordx4 v[6:7], v[0:3]
	v_add_co_u32 v6, s0, v6, s4
	v_cmp_le_i64_e32 vcc_lo, s[2:3], v[4:5]
	v_add_co_ci_u32_e64 v7, null, s5, v7, s0
	s_or_b32 s9, vcc_lo, s9
	s_andn2_b32 exec_lo, exec_lo, s9
	s_cbranch_execz .LBB50_6
.LBB50_4:                               ; =>This Inner Loop Header: Depth=1
	v_mov_b32_e32 v2, 0
	v_mov_b32_e32 v0, 0
	;; [unrolled: 1-line block ×4, first 2 shown]
	s_andn2_b32 vcc_lo, exec_lo, s6
	s_cbranch_vccnz .LBB50_3
; %bb.5:                                ;   in Loop: Header=BB50_4 Depth=1
	flat_load_dwordx4 v[8:11], v[6:7]
	s_waitcnt vmcnt(0) lgkmcnt(0)
	v_mul_f64 v[0:1], s[22:23], v[10:11]
	v_mul_f64 v[2:3], s[20:21], v[10:11]
	v_fma_f64 v[0:1], s[20:21], v[8:9], -v[0:1]
	v_fma_f64 v[2:3], s[22:23], v[8:9], v[2:3]
	s_branch .LBB50_3
.LBB50_6:
	s_inst_prefetch 0x2
	s_endpgm
	.section	.rodata,"a",@progbits
	.p2align	6, 0x0
	.amdhsa_kernel _ZL25rocblas_symm_scale_kernelILi128ELi8EPK19rocblas_complex_numIdEPKPS1_EviiT1_T2_llli
		.amdhsa_group_segment_fixed_size 0
		.amdhsa_private_segment_fixed_size 0
		.amdhsa_kernarg_size 312
		.amdhsa_user_sgpr_count 6
		.amdhsa_user_sgpr_private_segment_buffer 1
		.amdhsa_user_sgpr_dispatch_ptr 0
		.amdhsa_user_sgpr_queue_ptr 0
		.amdhsa_user_sgpr_kernarg_segment_ptr 1
		.amdhsa_user_sgpr_dispatch_id 0
		.amdhsa_user_sgpr_flat_scratch_init 0
		.amdhsa_user_sgpr_private_segment_size 0
		.amdhsa_wavefront_size32 1
		.amdhsa_uses_dynamic_stack 0
		.amdhsa_system_sgpr_private_segment_wavefront_offset 0
		.amdhsa_system_sgpr_workgroup_id_x 1
		.amdhsa_system_sgpr_workgroup_id_y 1
		.amdhsa_system_sgpr_workgroup_id_z 1
		.amdhsa_system_sgpr_workgroup_info 0
		.amdhsa_system_vgpr_workitem_id 1
		.amdhsa_next_free_vgpr 12
		.amdhsa_next_free_sgpr 24
		.amdhsa_reserve_vcc 1
		.amdhsa_reserve_flat_scratch 0
		.amdhsa_float_round_mode_32 0
		.amdhsa_float_round_mode_16_64 0
		.amdhsa_float_denorm_mode_32 3
		.amdhsa_float_denorm_mode_16_64 3
		.amdhsa_dx10_clamp 1
		.amdhsa_ieee_mode 1
		.amdhsa_fp16_overflow 0
		.amdhsa_workgroup_processor_mode 1
		.amdhsa_memory_ordered 1
		.amdhsa_forward_progress 1
		.amdhsa_shared_vgpr_count 0
		.amdhsa_exception_fp_ieee_invalid_op 0
		.amdhsa_exception_fp_denorm_src 0
		.amdhsa_exception_fp_ieee_div_zero 0
		.amdhsa_exception_fp_ieee_overflow 0
		.amdhsa_exception_fp_ieee_underflow 0
		.amdhsa_exception_fp_ieee_inexact 0
		.amdhsa_exception_int_div_zero 0
	.end_amdhsa_kernel
	.section	.text._ZL25rocblas_symm_scale_kernelILi128ELi8EPK19rocblas_complex_numIdEPKPS1_EviiT1_T2_llli,"axG",@progbits,_ZL25rocblas_symm_scale_kernelILi128ELi8EPK19rocblas_complex_numIdEPKPS1_EviiT1_T2_llli,comdat
.Lfunc_end50:
	.size	_ZL25rocblas_symm_scale_kernelILi128ELi8EPK19rocblas_complex_numIdEPKPS1_EviiT1_T2_llli, .Lfunc_end50-_ZL25rocblas_symm_scale_kernelILi128ELi8EPK19rocblas_complex_numIdEPKPS1_EviiT1_T2_llli
                                        ; -- End function
	.set _ZL25rocblas_symm_scale_kernelILi128ELi8EPK19rocblas_complex_numIdEPKPS1_EviiT1_T2_llli.num_vgpr, 12
	.set _ZL25rocblas_symm_scale_kernelILi128ELi8EPK19rocblas_complex_numIdEPKPS1_EviiT1_T2_llli.num_agpr, 0
	.set _ZL25rocblas_symm_scale_kernelILi128ELi8EPK19rocblas_complex_numIdEPKPS1_EviiT1_T2_llli.numbered_sgpr, 24
	.set _ZL25rocblas_symm_scale_kernelILi128ELi8EPK19rocblas_complex_numIdEPKPS1_EviiT1_T2_llli.num_named_barrier, 0
	.set _ZL25rocblas_symm_scale_kernelILi128ELi8EPK19rocblas_complex_numIdEPKPS1_EviiT1_T2_llli.private_seg_size, 0
	.set _ZL25rocblas_symm_scale_kernelILi128ELi8EPK19rocblas_complex_numIdEPKPS1_EviiT1_T2_llli.uses_vcc, 1
	.set _ZL25rocblas_symm_scale_kernelILi128ELi8EPK19rocblas_complex_numIdEPKPS1_EviiT1_T2_llli.uses_flat_scratch, 0
	.set _ZL25rocblas_symm_scale_kernelILi128ELi8EPK19rocblas_complex_numIdEPKPS1_EviiT1_T2_llli.has_dyn_sized_stack, 0
	.set _ZL25rocblas_symm_scale_kernelILi128ELi8EPK19rocblas_complex_numIdEPKPS1_EviiT1_T2_llli.has_recursion, 0
	.set _ZL25rocblas_symm_scale_kernelILi128ELi8EPK19rocblas_complex_numIdEPKPS1_EviiT1_T2_llli.has_indirect_call, 0
	.section	.AMDGPU.csdata,"",@progbits
; Kernel info:
; codeLenInByte = 456
; TotalNumSgprs: 26
; NumVgprs: 12
; ScratchSize: 0
; MemoryBound: 0
; FloatMode: 240
; IeeeMode: 1
; LDSByteSize: 0 bytes/workgroup (compile time only)
; SGPRBlocks: 0
; VGPRBlocks: 1
; NumSGPRsForWavesPerEU: 26
; NumVGPRsForWavesPerEU: 12
; Occupancy: 16
; WaveLimiterHint : 0
; COMPUTE_PGM_RSRC2:SCRATCH_EN: 0
; COMPUTE_PGM_RSRC2:USER_SGPR: 6
; COMPUTE_PGM_RSRC2:TRAP_HANDLER: 0
; COMPUTE_PGM_RSRC2:TGID_X_EN: 1
; COMPUTE_PGM_RSRC2:TGID_Y_EN: 1
; COMPUTE_PGM_RSRC2:TGID_Z_EN: 1
; COMPUTE_PGM_RSRC2:TIDIG_COMP_CNT: 1
	.section	.text._ZL24rocblas_symm_hemm_kernelILb0ELb0ELi32EPK19rocblas_complex_numIdEPKS3_PKPS1_EvbiiT2_T3_lllSA_lllT4_llli,"axG",@progbits,_ZL24rocblas_symm_hemm_kernelILb0ELb0ELi32EPK19rocblas_complex_numIdEPKS3_PKPS1_EvbiiT2_T3_lllSA_lllT4_llli,comdat
	.globl	_ZL24rocblas_symm_hemm_kernelILb0ELb0ELi32EPK19rocblas_complex_numIdEPKS3_PKPS1_EvbiiT2_T3_lllSA_lllT4_llli ; -- Begin function _ZL24rocblas_symm_hemm_kernelILb0ELb0ELi32EPK19rocblas_complex_numIdEPKS3_PKPS1_EvbiiT2_T3_lllSA_lllT4_llli
	.p2align	8
	.type	_ZL24rocblas_symm_hemm_kernelILb0ELb0ELi32EPK19rocblas_complex_numIdEPKS3_PKPS1_EvbiiT2_T3_lllSA_lllT4_llli,@function
_ZL24rocblas_symm_hemm_kernelILb0ELb0ELi32EPK19rocblas_complex_numIdEPKS3_PKPS1_EvbiiT2_T3_lllSA_lllT4_llli: ; @_ZL24rocblas_symm_hemm_kernelILb0ELb0ELi32EPK19rocblas_complex_numIdEPKS3_PKPS1_EvbiiT2_T3_lllSA_lllT4_llli
; %bb.0:
	s_load_dwordx8 s[12:19], s[4:5], 0x10
	s_waitcnt lgkmcnt(0)
	s_load_dwordx4 s[20:23], s[12:13], 0x0
	s_waitcnt lgkmcnt(0)
	v_cmp_eq_f64_e64 s0, s[20:21], 0
	v_cmp_eq_f64_e64 s1, s[22:23], 0
	s_and_b32 s0, s0, s1
	s_and_b32 vcc_lo, exec_lo, s0
	s_cbranch_vccnz .LBB51_15
; %bb.1:
	s_load_dwordx4 s[24:27], s[4:5], 0x0
	s_waitcnt lgkmcnt(0)
	s_add_i32 s0, s26, -1
	s_ashr_i32 s1, s0, 31
	s_lshr_b32 s1, s1, 27
	s_add_i32 s0, s0, s1
	s_ashr_i32 s3, s0, 5
	s_cmp_gt_i32 s7, s3
	s_cbranch_scc1 .LBB51_15
; %bb.2:
	s_mov_b32 s9, 0
	v_lshl_add_u32 v10, s6, 5, v0
	s_lshl_b64 s[0:1], s[8:9], 3
	v_lshlrev_b32_e32 v15, 9, v0
	s_add_u32 s8, s14, s0
	s_addc_u32 s9, s15, s1
	s_lshl_b64 s[12:13], s[16:17], 4
	s_load_dwordx2 s[10:11], s[8:9], 0x0
	s_clause 0x1
	s_load_dwordx4 s[28:31], s[4:5], 0x38
	s_load_dwordx2 s[8:9], s[4:5], 0x48
	v_lshlrev_b32_e32 v2, 4, v1
	v_ashrrev_i32_e32 v11, 31, v10
	v_add_nc_u32_e32 v16, v15, v2
	v_or_b32_e32 v17, 0x4000, v2
	v_lshlrev_b64 v[2:3], 4, v[10:11]
	v_add_nc_u32_e32 v18, v17, v15
	s_waitcnt lgkmcnt(0)
	s_add_u32 s12, s10, s12
	s_addc_u32 s13, s11, s13
	s_add_u32 s10, s28, s0
	s_addc_u32 s11, s29, s1
	s_lshl_b64 s[16:17], s[30:31], 4
	s_load_dwordx2 s[14:15], s[10:11], 0x0
	s_clause 0x2
	s_load_dwordx4 s[36:39], s[4:5], 0x58
	s_load_dwordx2 s[10:11], s[4:5], 0x68
	s_load_dword s4, s[4:5], 0x84
	s_waitcnt lgkmcnt(0)
	s_add_u32 s14, s14, s16
	s_addc_u32 s15, s15, s17
	s_add_u32 s0, s36, s0
	s_addc_u32 s1, s37, s1
	s_bitcmp1_b32 s24, 0
	s_load_dwordx2 s[16:17], s[0:1], 0x0
	s_cselect_b32 s1, -1, 0
	s_lshl_b64 s[28:29], s[38:39], 4
	v_cmp_gt_i32_e64 s0, s25, v10
	s_waitcnt lgkmcnt(0)
	s_add_u32 s2, s16, s28
	s_addc_u32 s5, s17, s29
	v_add_co_u32 v19, vcc_lo, s2, v2
	v_add_co_ci_u32_e64 v20, null, s5, v3, vcc_lo
	s_cmp_gt_i32 s25, 0
	s_cselect_b32 s5, -1, 0
	s_branch .LBB51_4
.LBB51_3:                               ;   in Loop: Header=BB51_4 Depth=1
	s_add_i32 s7, s7, s4
	s_cmp_gt_i32 s7, s3
	s_cbranch_scc1 .LBB51_15
.LBB51_4:                               ; =>This Loop Header: Depth=1
                                        ;     Child Loop BB51_7 Depth 2
                                        ;       Child Loop BB51_13 Depth 3
	s_andn2_b32 vcc_lo, exec_lo, s5
	s_cbranch_vccnz .LBB51_3
; %bb.5:                                ;   in Loop: Header=BB51_4 Depth=1
	v_lshl_add_u32 v6, s7, 5, v1
	s_mov_b32 s16, 0
	v_ashrrev_i32_e32 v7, 31, v6
	v_mul_lo_u32 v8, s9, v6
	v_mad_u64_u32 v[2:3], null, s8, v6, 0
	v_mul_lo_u32 v11, s11, v6
	v_mul_lo_u32 v9, s8, v7
	v_mad_u64_u32 v[4:5], null, s10, v6, 0
	v_mul_lo_u32 v7, s10, v7
	v_cmp_gt_i32_e32 vcc_lo, s26, v6
	v_add3_u32 v3, v3, v9, v8
	s_and_b32 s6, s0, vcc_lo
	v_add3_u32 v5, v5, v7, v11
	v_lshlrev_b64 v[2:3], 4, v[2:3]
	v_lshlrev_b64 v[4:5], 4, v[4:5]
	v_add_co_u32 v21, s2, s14, v2
	v_add_co_ci_u32_e64 v22, null, s15, v3, s2
	v_add_co_u32 v11, s2, v19, v4
	v_add_co_ci_u32_e64 v12, null, v20, v5, s2
	s_branch .LBB51_7
.LBB51_6:                               ;   in Loop: Header=BB51_7 Depth=2
	s_or_b32 exec_lo, exec_lo, s2
	s_add_i32 s16, s16, 32
	s_waitcnt lgkmcnt(0)
	s_waitcnt_vscnt null, 0x0
	s_cmp_ge_i32 s16, s25
	s_barrier
	buffer_gl0_inv
	s_cbranch_scc1 .LBB51_3
.LBB51_7:                               ;   Parent Loop BB51_4 Depth=1
                                        ; =>  This Loop Header: Depth=2
                                        ;       Child Loop BB51_13 Depth 3
	v_add_nc_u32_e32 v2, s16, v1
	v_mov_b32_e32 v6, 0
	v_mov_b32_e32 v8, 0
	;; [unrolled: 1-line block ×4, first 2 shown]
	v_cndmask_b32_e64 v3, v2, v10, s1
	v_cndmask_b32_e64 v4, v10, v2, s1
	s_mov_b32 s17, exec_lo
	v_cmp_gt_i32_e64 s2, v3, v4
	v_cndmask_b32_e64 v4, v10, v2, s2
	v_cndmask_b32_e64 v5, v2, v10, s2
	v_mov_b32_e32 v2, 0
	v_mov_b32_e32 v3, 0
	v_max_i32_e32 v13, v4, v5
	v_cmpx_gt_i32_e64 s25, v13
	s_cbranch_execz .LBB51_9
; %bb.8:                                ;   in Loop: Header=BB51_7 Depth=2
	v_ashrrev_i32_e32 v8, 31, v5
	v_mul_lo_u32 v9, s19, v5
	v_mad_u64_u32 v[6:7], null, s18, v5, 0
	v_mul_lo_u32 v5, s18, v8
	v_add3_u32 v7, v7, v5, v9
	v_ashrrev_i32_e32 v5, 31, v4
	v_lshlrev_b64 v[6:7], 4, v[6:7]
	v_lshlrev_b64 v[4:5], 4, v[4:5]
	v_add_co_u32 v6, s2, s12, v6
	v_add_co_ci_u32_e64 v7, null, s13, v7, s2
	v_add_co_u32 v4, s2, v6, v4
	v_add_co_ci_u32_e64 v5, null, v7, v5, s2
	flat_load_dwordx4 v[6:9], v[4:5]
.LBB51_9:                               ;   in Loop: Header=BB51_7 Depth=2
	s_or_b32 exec_lo, exec_lo, s17
	v_add_nc_u32_e32 v13, s16, v0
	v_mov_b32_e32 v4, 0
	v_mov_b32_e32 v5, 0
	s_waitcnt vmcnt(0) lgkmcnt(0)
	ds_write_b128 v16, v[6:9]
	v_cmp_gt_i32_e64 s2, s25, v13
	s_and_b32 s2, s2, vcc_lo
	s_and_saveexec_b32 s17, s2
	s_cbranch_execz .LBB51_11
; %bb.10:                               ;   in Loop: Header=BB51_7 Depth=2
	v_ashrrev_i32_e32 v14, 31, v13
	v_lshlrev_b64 v[2:3], 4, v[13:14]
	v_add_co_u32 v2, s2, v21, v2
	v_add_co_ci_u32_e64 v3, null, v22, v3, s2
	flat_load_dwordx4 v[2:5], v[2:3]
.LBB51_11:                              ;   in Loop: Header=BB51_7 Depth=2
	s_or_b32 exec_lo, exec_lo, s17
	s_waitcnt vmcnt(0) lgkmcnt(0)
	ds_write_b128 v18, v[2:5]
	s_waitcnt lgkmcnt(0)
	s_barrier
	buffer_gl0_inv
	s_and_saveexec_b32 s2, s6
	s_cbranch_execz .LBB51_6
; %bb.12:                               ;   in Loop: Header=BB51_7 Depth=2
	v_mov_b32_e32 v2, 0
	v_mov_b32_e32 v4, 0
	;; [unrolled: 1-line block ×5, first 2 shown]
	s_mov_b32 s17, 0
.LBB51_13:                              ;   Parent Loop BB51_4 Depth=1
                                        ;     Parent Loop BB51_7 Depth=2
                                        ; =>    This Inner Loop Header: Depth=3
	v_add_nc_u32_e32 v9, s17, v15
	s_addk_i32 s17, 0x80
	ds_read_b128 v[23:26], v6
	ds_read_b128 v[27:30], v9
	ds_read_b128 v[31:34], v6 offset:512
	ds_read_b128 v[35:38], v9 offset:16
	;; [unrolled: 1-line block ×3, first 2 shown]
	s_cmpk_eq_i32 s17, 0x200
	s_waitcnt lgkmcnt(3)
	v_mul_f64 v[7:8], v[25:26], v[29:30]
	v_mul_f64 v[13:14], v[23:24], v[29:30]
	s_waitcnt lgkmcnt(1)
	v_mul_f64 v[47:48], v[33:34], v[37:38]
	v_mul_f64 v[37:38], v[31:32], v[37:38]
	v_fma_f64 v[7:8], v[23:24], v[27:28], -v[7:8]
	v_fma_f64 v[13:14], v[25:26], v[27:28], v[13:14]
	ds_read_b128 v[23:26], v9 offset:32
	ds_read_b128 v[27:30], v6 offset:1536
	;; [unrolled: 1-line block ×3, first 2 shown]
	v_fma_f64 v[31:32], v[31:32], v[35:36], -v[47:48]
	v_fma_f64 v[33:34], v[33:34], v[35:36], v[37:38]
	s_waitcnt lgkmcnt(2)
	v_mul_f64 v[49:50], v[41:42], v[25:26]
	v_mul_f64 v[25:26], v[39:40], v[25:26]
	v_add_f64 v[7:8], v[2:3], v[7:8]
	v_add_f64 v[13:14], v[4:5], v[13:14]
	s_waitcnt lgkmcnt(0)
	v_mul_f64 v[47:48], v[29:30], v[45:46]
	v_mul_f64 v[45:46], v[27:28], v[45:46]
	ds_read_b128 v[2:5], v6 offset:2048
	v_fma_f64 v[39:40], v[39:40], v[23:24], -v[49:50]
	v_fma_f64 v[41:42], v[41:42], v[23:24], v[25:26]
	v_add_f64 v[7:8], v[7:8], v[31:32]
	v_add_f64 v[13:14], v[13:14], v[33:34]
	ds_read_b128 v[23:26], v9 offset:64
	ds_read_b128 v[31:34], v6 offset:2560
	;; [unrolled: 1-line block ×3, first 2 shown]
	v_fma_f64 v[47:48], v[27:28], v[43:44], -v[47:48]
	v_fma_f64 v[29:30], v[29:30], v[43:44], v[45:46]
	s_waitcnt lgkmcnt(2)
	v_mul_f64 v[49:50], v[4:5], v[25:26]
	v_mul_f64 v[51:52], v[2:3], v[25:26]
	v_add_f64 v[7:8], v[7:8], v[39:40]
	v_add_f64 v[13:14], v[13:14], v[41:42]
	s_waitcnt lgkmcnt(0)
	v_mul_f64 v[45:46], v[33:34], v[37:38]
	v_mul_f64 v[53:54], v[31:32], v[37:38]
	ds_read_b128 v[25:28], v6 offset:3072
	v_fma_f64 v[49:50], v[2:3], v[23:24], -v[49:50]
	v_fma_f64 v[23:24], v[4:5], v[23:24], v[51:52]
	v_add_f64 v[7:8], v[7:8], v[47:48]
	v_add_f64 v[13:14], v[13:14], v[29:30]
	ds_read_b128 v[2:5], v9 offset:96
	ds_read_b128 v[37:40], v6 offset:3584
	;; [unrolled: 1-line block ×3, first 2 shown]
	v_fma_f64 v[31:32], v[31:32], v[35:36], -v[45:46]
	v_fma_f64 v[33:34], v[33:34], v[35:36], v[53:54]
	v_add_nc_u32_e32 v6, 0x1000, v6
	s_waitcnt lgkmcnt(2)
	v_mul_f64 v[29:30], v[27:28], v[4:5]
	v_mul_f64 v[4:5], v[25:26], v[4:5]
	v_add_f64 v[7:8], v[7:8], v[49:50]
	v_add_f64 v[13:14], v[13:14], v[23:24]
	s_waitcnt lgkmcnt(0)
	v_mul_f64 v[23:24], v[39:40], v[43:44]
	v_mul_f64 v[35:36], v[37:38], v[43:44]
	v_fma_f64 v[25:26], v[25:26], v[2:3], -v[29:30]
	v_fma_f64 v[2:3], v[27:28], v[2:3], v[4:5]
	v_add_f64 v[4:5], v[7:8], v[31:32]
	v_add_f64 v[7:8], v[13:14], v[33:34]
	v_fma_f64 v[13:14], v[37:38], v[41:42], -v[23:24]
	v_fma_f64 v[23:24], v[39:40], v[41:42], v[35:36]
	v_add_f64 v[4:5], v[4:5], v[25:26]
	v_add_f64 v[7:8], v[7:8], v[2:3]
	;; [unrolled: 1-line block ×4, first 2 shown]
	s_cbranch_scc0 .LBB51_13
; %bb.14:                               ;   in Loop: Header=BB51_7 Depth=2
	flat_load_dwordx4 v[6:9], v[11:12]
	v_mul_f64 v[13:14], s[22:23], v[4:5]
	v_mul_f64 v[23:24], s[22:23], v[2:3]
	v_fma_f64 v[2:3], s[20:21], v[2:3], -v[13:14]
	v_fma_f64 v[4:5], s[20:21], v[4:5], v[23:24]
	s_waitcnt vmcnt(0) lgkmcnt(0)
	v_add_f64 v[2:3], v[2:3], v[6:7]
	v_add_f64 v[4:5], v[4:5], v[8:9]
	flat_store_dwordx4 v[11:12], v[2:5]
	s_branch .LBB51_6
.LBB51_15:
	s_endpgm
	.section	.rodata,"a",@progbits
	.p2align	6, 0x0
	.amdhsa_kernel _ZL24rocblas_symm_hemm_kernelILb0ELb0ELi32EPK19rocblas_complex_numIdEPKS3_PKPS1_EvbiiT2_T3_lllSA_lllT4_llli
		.amdhsa_group_segment_fixed_size 32768
		.amdhsa_private_segment_fixed_size 0
		.amdhsa_kernarg_size 384
		.amdhsa_user_sgpr_count 6
		.amdhsa_user_sgpr_private_segment_buffer 1
		.amdhsa_user_sgpr_dispatch_ptr 0
		.amdhsa_user_sgpr_queue_ptr 0
		.amdhsa_user_sgpr_kernarg_segment_ptr 1
		.amdhsa_user_sgpr_dispatch_id 0
		.amdhsa_user_sgpr_flat_scratch_init 0
		.amdhsa_user_sgpr_private_segment_size 0
		.amdhsa_wavefront_size32 1
		.amdhsa_uses_dynamic_stack 0
		.amdhsa_system_sgpr_private_segment_wavefront_offset 0
		.amdhsa_system_sgpr_workgroup_id_x 1
		.amdhsa_system_sgpr_workgroup_id_y 1
		.amdhsa_system_sgpr_workgroup_id_z 1
		.amdhsa_system_sgpr_workgroup_info 0
		.amdhsa_system_vgpr_workitem_id 1
		.amdhsa_next_free_vgpr 55
		.amdhsa_next_free_sgpr 40
		.amdhsa_reserve_vcc 1
		.amdhsa_reserve_flat_scratch 0
		.amdhsa_float_round_mode_32 0
		.amdhsa_float_round_mode_16_64 0
		.amdhsa_float_denorm_mode_32 3
		.amdhsa_float_denorm_mode_16_64 3
		.amdhsa_dx10_clamp 1
		.amdhsa_ieee_mode 1
		.amdhsa_fp16_overflow 0
		.amdhsa_workgroup_processor_mode 1
		.amdhsa_memory_ordered 1
		.amdhsa_forward_progress 1
		.amdhsa_shared_vgpr_count 0
		.amdhsa_exception_fp_ieee_invalid_op 0
		.amdhsa_exception_fp_denorm_src 0
		.amdhsa_exception_fp_ieee_div_zero 0
		.amdhsa_exception_fp_ieee_overflow 0
		.amdhsa_exception_fp_ieee_underflow 0
		.amdhsa_exception_fp_ieee_inexact 0
		.amdhsa_exception_int_div_zero 0
	.end_amdhsa_kernel
	.section	.text._ZL24rocblas_symm_hemm_kernelILb0ELb0ELi32EPK19rocblas_complex_numIdEPKS3_PKPS1_EvbiiT2_T3_lllSA_lllT4_llli,"axG",@progbits,_ZL24rocblas_symm_hemm_kernelILb0ELb0ELi32EPK19rocblas_complex_numIdEPKS3_PKPS1_EvbiiT2_T3_lllSA_lllT4_llli,comdat
.Lfunc_end51:
	.size	_ZL24rocblas_symm_hemm_kernelILb0ELb0ELi32EPK19rocblas_complex_numIdEPKS3_PKPS1_EvbiiT2_T3_lllSA_lllT4_llli, .Lfunc_end51-_ZL24rocblas_symm_hemm_kernelILb0ELb0ELi32EPK19rocblas_complex_numIdEPKS3_PKPS1_EvbiiT2_T3_lllSA_lllT4_llli
                                        ; -- End function
	.set _ZL24rocblas_symm_hemm_kernelILb0ELb0ELi32EPK19rocblas_complex_numIdEPKS3_PKPS1_EvbiiT2_T3_lllSA_lllT4_llli.num_vgpr, 55
	.set _ZL24rocblas_symm_hemm_kernelILb0ELb0ELi32EPK19rocblas_complex_numIdEPKS3_PKPS1_EvbiiT2_T3_lllSA_lllT4_llli.num_agpr, 0
	.set _ZL24rocblas_symm_hemm_kernelILb0ELb0ELi32EPK19rocblas_complex_numIdEPKS3_PKPS1_EvbiiT2_T3_lllSA_lllT4_llli.numbered_sgpr, 40
	.set _ZL24rocblas_symm_hemm_kernelILb0ELb0ELi32EPK19rocblas_complex_numIdEPKS3_PKPS1_EvbiiT2_T3_lllSA_lllT4_llli.num_named_barrier, 0
	.set _ZL24rocblas_symm_hemm_kernelILb0ELb0ELi32EPK19rocblas_complex_numIdEPKS3_PKPS1_EvbiiT2_T3_lllSA_lllT4_llli.private_seg_size, 0
	.set _ZL24rocblas_symm_hemm_kernelILb0ELb0ELi32EPK19rocblas_complex_numIdEPKS3_PKPS1_EvbiiT2_T3_lllSA_lllT4_llli.uses_vcc, 1
	.set _ZL24rocblas_symm_hemm_kernelILb0ELb0ELi32EPK19rocblas_complex_numIdEPKS3_PKPS1_EvbiiT2_T3_lllSA_lllT4_llli.uses_flat_scratch, 0
	.set _ZL24rocblas_symm_hemm_kernelILb0ELb0ELi32EPK19rocblas_complex_numIdEPKS3_PKPS1_EvbiiT2_T3_lllSA_lllT4_llli.has_dyn_sized_stack, 0
	.set _ZL24rocblas_symm_hemm_kernelILb0ELb0ELi32EPK19rocblas_complex_numIdEPKS3_PKPS1_EvbiiT2_T3_lllSA_lllT4_llli.has_recursion, 0
	.set _ZL24rocblas_symm_hemm_kernelILb0ELb0ELi32EPK19rocblas_complex_numIdEPKS3_PKPS1_EvbiiT2_T3_lllSA_lllT4_llli.has_indirect_call, 0
	.section	.AMDGPU.csdata,"",@progbits
; Kernel info:
; codeLenInByte = 1504
; TotalNumSgprs: 42
; NumVgprs: 55
; ScratchSize: 0
; MemoryBound: 1
; FloatMode: 240
; IeeeMode: 1
; LDSByteSize: 32768 bytes/workgroup (compile time only)
; SGPRBlocks: 0
; VGPRBlocks: 6
; NumSGPRsForWavesPerEU: 42
; NumVGPRsForWavesPerEU: 55
; Occupancy: 16
; WaveLimiterHint : 1
; COMPUTE_PGM_RSRC2:SCRATCH_EN: 0
; COMPUTE_PGM_RSRC2:USER_SGPR: 6
; COMPUTE_PGM_RSRC2:TRAP_HANDLER: 0
; COMPUTE_PGM_RSRC2:TGID_X_EN: 1
; COMPUTE_PGM_RSRC2:TGID_Y_EN: 1
; COMPUTE_PGM_RSRC2:TGID_Z_EN: 1
; COMPUTE_PGM_RSRC2:TIDIG_COMP_CNT: 1
	.section	.text._ZL24rocblas_symm_hemm_kernelILb0ELb1ELi32EPK19rocblas_complex_numIdEPKS3_PKPS1_EvbiiT2_T3_lllSA_lllT4_llli,"axG",@progbits,_ZL24rocblas_symm_hemm_kernelILb0ELb1ELi32EPK19rocblas_complex_numIdEPKS3_PKPS1_EvbiiT2_T3_lllSA_lllT4_llli,comdat
	.globl	_ZL24rocblas_symm_hemm_kernelILb0ELb1ELi32EPK19rocblas_complex_numIdEPKS3_PKPS1_EvbiiT2_T3_lllSA_lllT4_llli ; -- Begin function _ZL24rocblas_symm_hemm_kernelILb0ELb1ELi32EPK19rocblas_complex_numIdEPKS3_PKPS1_EvbiiT2_T3_lllSA_lllT4_llli
	.p2align	8
	.type	_ZL24rocblas_symm_hemm_kernelILb0ELb1ELi32EPK19rocblas_complex_numIdEPKS3_PKPS1_EvbiiT2_T3_lllSA_lllT4_llli,@function
_ZL24rocblas_symm_hemm_kernelILb0ELb1ELi32EPK19rocblas_complex_numIdEPKS3_PKPS1_EvbiiT2_T3_lllSA_lllT4_llli: ; @_ZL24rocblas_symm_hemm_kernelILb0ELb1ELi32EPK19rocblas_complex_numIdEPKS3_PKPS1_EvbiiT2_T3_lllSA_lllT4_llli
; %bb.0:
	s_load_dwordx8 s[12:19], s[4:5], 0x10
	s_waitcnt lgkmcnt(0)
	s_load_dwordx4 s[20:23], s[12:13], 0x0
	s_waitcnt lgkmcnt(0)
	v_cmp_eq_f64_e64 s0, s[20:21], 0
	v_cmp_eq_f64_e64 s1, s[22:23], 0
	s_and_b32 s0, s0, s1
	s_and_b32 vcc_lo, exec_lo, s0
	s_cbranch_vccnz .LBB52_15
; %bb.1:
	s_load_dwordx4 s[24:27], s[4:5], 0x0
	s_waitcnt lgkmcnt(0)
	s_add_i32 s0, s26, -1
	s_ashr_i32 s1, s0, 31
	s_lshr_b32 s1, s1, 27
	s_add_i32 s0, s0, s1
	s_ashr_i32 s27, s0, 5
	s_cmp_gt_i32 s7, s27
	s_cbranch_scc1 .LBB52_15
; %bb.2:
	s_mov_b32 s9, 0
	v_lshl_add_u32 v2, s6, 5, v0
	s_lshl_b64 s[28:29], s[8:9], 3
	v_lshlrev_b32_e32 v4, 4, v1
	s_add_u32 s0, s14, s28
	s_addc_u32 s1, s15, s29
	s_lshl_b64 s[16:17], s[16:17], 4
	s_load_dwordx2 s[30:31], s[0:1], 0x0
	s_clause 0x3
	s_load_dwordx4 s[0:3], s[4:5], 0x38
	s_load_dwordx4 s[8:11], s[4:5], 0x58
	s_load_dwordx2 s[12:13], s[4:5], 0x48
	s_load_dwordx2 s[14:15], s[4:5], 0x68
	v_ashrrev_i32_e32 v3, 31, v2
	v_lshlrev_b32_e32 v14, 9, v0
	v_or_b32_e32 v16, 0x4000, v4
	v_add_nc_u32_e32 v15, v14, v4
	v_add_nc_u32_e32 v17, v16, v14
	s_waitcnt lgkmcnt(0)
	s_add_u32 s16, s30, s16
	s_addc_u32 s17, s31, s17
	s_add_u32 s0, s0, s28
	s_addc_u32 s1, s1, s29
	s_add_u32 s8, s8, s28
	s_addc_u32 s9, s9, s29
	s_bitcmp1_b32 s24, 0
	s_load_dwordx2 s[8:9], s[8:9], 0x0
	s_load_dwordx2 s[28:29], s[0:1], 0x0
	s_load_dword s4, s[4:5], 0x84
	v_cmp_gt_i32_e64 s0, s25, v2
	v_lshlrev_b64 v[2:3], 4, v[2:3]
	s_cselect_b32 s1, -1, 0
	s_lshl_b64 s[10:11], s[10:11], 4
	s_waitcnt lgkmcnt(0)
	s_add_u32 s5, s8, s10
	s_addc_u32 s6, s9, s11
	s_lshl_b64 s[2:3], s[2:3], 4
	v_add_co_u32 v18, vcc_lo, s5, v2
	s_add_u32 s2, s28, s2
	v_add_co_ci_u32_e64 v19, null, s6, v3, vcc_lo
	s_addc_u32 s3, s29, s3
	v_add_co_u32 v20, vcc_lo, s2, v2
	v_add_co_ci_u32_e64 v21, null, s3, v3, vcc_lo
	s_cmp_gt_i32 s26, 0
	s_cselect_b32 s3, -1, 0
	s_branch .LBB52_4
.LBB52_3:                               ;   in Loop: Header=BB52_4 Depth=1
	s_add_i32 s7, s7, s4
	s_cmp_gt_i32 s7, s27
	s_cbranch_scc1 .LBB52_15
.LBB52_4:                               ; =>This Loop Header: Depth=1
                                        ;     Child Loop BB52_7 Depth 2
                                        ;       Child Loop BB52_13 Depth 3
	s_andn2_b32 vcc_lo, exec_lo, s3
	s_cbranch_vccnz .LBB52_3
; %bb.5:                                ;   in Loop: Header=BB52_4 Depth=1
	v_lshl_add_u32 v22, s7, 5, v1
	s_mov_b32 s5, 0
	v_ashrrev_i32_e32 v4, 31, v22
	v_mul_lo_u32 v5, s15, v22
	v_mad_u64_u32 v[2:3], null, s14, v22, 0
	v_cmp_gt_i32_e32 vcc_lo, s26, v22
	v_mul_lo_u32 v4, s14, v4
	v_add3_u32 v3, v3, v4, v5
	v_lshlrev_b64 v[2:3], 4, v[2:3]
	v_add_co_u32 v10, s2, v18, v2
	v_add_co_ci_u32_e64 v11, null, v19, v3, s2
	s_and_b32 s2, s0, vcc_lo
	s_branch .LBB52_7
.LBB52_6:                               ;   in Loop: Header=BB52_7 Depth=2
	s_or_b32 exec_lo, exec_lo, s6
	s_add_i32 s5, s5, 32
	s_waitcnt lgkmcnt(0)
	s_waitcnt_vscnt null, 0x0
	s_cmp_ge_i32 s5, s26
	s_barrier
	buffer_gl0_inv
	s_cbranch_scc1 .LBB52_3
.LBB52_7:                               ;   Parent Loop BB52_4 Depth=1
                                        ; =>  This Loop Header: Depth=2
                                        ;       Child Loop BB52_13 Depth 3
	v_add_nc_u32_e32 v4, s5, v1
	v_mov_b32_e32 v2, 0
	v_mov_b32_e32 v6, 0
	;; [unrolled: 1-line block ×4, first 2 shown]
	v_cmp_gt_i32_e32 vcc_lo, s26, v4
	v_mov_b32_e32 v7, 0
	v_mov_b32_e32 v9, 0
	s_and_b32 s8, s0, vcc_lo
	s_and_saveexec_b32 s6, s8
	s_cbranch_execz .LBB52_9
; %bb.8:                                ;   in Loop: Header=BB52_7 Depth=2
	v_ashrrev_i32_e32 v6, 31, v4
	v_mul_lo_u32 v7, s13, v4
	v_mad_u64_u32 v[4:5], null, s12, v4, 0
	v_mul_lo_u32 v6, s12, v6
	v_add3_u32 v5, v5, v6, v7
	v_lshlrev_b64 v[4:5], 4, v[4:5]
	v_add_co_u32 v4, vcc_lo, v20, v4
	v_add_co_ci_u32_e64 v5, null, v21, v5, vcc_lo
	flat_load_dwordx4 v[6:9], v[4:5]
.LBB52_9:                               ;   in Loop: Header=BB52_7 Depth=2
	s_or_b32 exec_lo, exec_lo, s6
	v_add_nc_u32_e32 v4, s5, v0
	s_mov_b32 s6, exec_lo
	s_waitcnt vmcnt(0) lgkmcnt(0)
	ds_write_b128 v15, v[6:9]
	v_cndmask_b32_e64 v5, v22, v4, s1
	v_cndmask_b32_e64 v12, v4, v22, s1
	v_cmp_gt_i32_e32 vcc_lo, v5, v12
	v_cndmask_b32_e32 v12, v4, v22, vcc_lo
	v_cndmask_b32_e32 v13, v22, v4, vcc_lo
	v_mov_b32_e32 v4, 0
	v_mov_b32_e32 v5, 0
	v_max_i32_e32 v23, v12, v13
	v_cmpx_gt_i32_e64 s26, v23
	s_cbranch_execz .LBB52_11
; %bb.10:                               ;   in Loop: Header=BB52_7 Depth=2
	v_ashrrev_i32_e32 v4, 31, v13
	v_mul_lo_u32 v5, s19, v13
	v_mad_u64_u32 v[2:3], null, s18, v13, 0
	v_ashrrev_i32_e32 v13, 31, v12
	v_mul_lo_u32 v4, s18, v4
	v_add3_u32 v3, v3, v4, v5
	v_lshlrev_b64 v[4:5], 4, v[12:13]
	v_lshlrev_b64 v[2:3], 4, v[2:3]
	v_add_co_u32 v2, vcc_lo, s16, v2
	v_add_co_ci_u32_e64 v3, null, s17, v3, vcc_lo
	v_add_co_u32 v2, vcc_lo, v2, v4
	v_add_co_ci_u32_e64 v3, null, v3, v5, vcc_lo
	flat_load_dwordx4 v[2:5], v[2:3]
.LBB52_11:                              ;   in Loop: Header=BB52_7 Depth=2
	s_or_b32 exec_lo, exec_lo, s6
	s_waitcnt vmcnt(0) lgkmcnt(0)
	ds_write_b128 v17, v[2:5]
	s_waitcnt lgkmcnt(0)
	s_barrier
	buffer_gl0_inv
	s_and_saveexec_b32 s6, s2
	s_cbranch_execz .LBB52_6
; %bb.12:                               ;   in Loop: Header=BB52_7 Depth=2
	v_mov_b32_e32 v2, 0
	v_mov_b32_e32 v4, 0
	;; [unrolled: 1-line block ×5, first 2 shown]
	s_mov_b32 s8, 0
.LBB52_13:                              ;   Parent Loop BB52_4 Depth=1
                                        ;     Parent Loop BB52_7 Depth=2
                                        ; =>    This Inner Loop Header: Depth=3
	v_add_nc_u32_e32 v9, s8, v14
	s_addk_i32 s8, 0x80
	ds_read_b128 v[23:26], v6
	ds_read_b128 v[27:30], v9
	ds_read_b128 v[31:34], v6 offset:512
	ds_read_b128 v[35:38], v9 offset:16
	;; [unrolled: 1-line block ×3, first 2 shown]
	s_cmpk_eq_i32 s8, 0x200
	s_waitcnt lgkmcnt(3)
	v_mul_f64 v[7:8], v[25:26], v[29:30]
	v_mul_f64 v[12:13], v[23:24], v[29:30]
	s_waitcnt lgkmcnt(1)
	v_mul_f64 v[47:48], v[33:34], v[37:38]
	v_mul_f64 v[37:38], v[31:32], v[37:38]
	v_fma_f64 v[7:8], v[23:24], v[27:28], -v[7:8]
	v_fma_f64 v[12:13], v[25:26], v[27:28], v[12:13]
	ds_read_b128 v[23:26], v9 offset:32
	ds_read_b128 v[27:30], v6 offset:1536
	ds_read_b128 v[43:46], v9 offset:48
	v_fma_f64 v[31:32], v[31:32], v[35:36], -v[47:48]
	v_fma_f64 v[33:34], v[33:34], v[35:36], v[37:38]
	s_waitcnt lgkmcnt(2)
	v_mul_f64 v[49:50], v[41:42], v[25:26]
	v_mul_f64 v[25:26], v[39:40], v[25:26]
	v_add_f64 v[7:8], v[2:3], v[7:8]
	v_add_f64 v[12:13], v[4:5], v[12:13]
	s_waitcnt lgkmcnt(0)
	v_mul_f64 v[47:48], v[29:30], v[45:46]
	v_mul_f64 v[45:46], v[27:28], v[45:46]
	ds_read_b128 v[2:5], v6 offset:2048
	v_fma_f64 v[39:40], v[39:40], v[23:24], -v[49:50]
	v_fma_f64 v[41:42], v[41:42], v[23:24], v[25:26]
	v_add_f64 v[7:8], v[7:8], v[31:32]
	v_add_f64 v[12:13], v[12:13], v[33:34]
	ds_read_b128 v[23:26], v9 offset:64
	ds_read_b128 v[31:34], v6 offset:2560
	ds_read_b128 v[35:38], v9 offset:80
	v_fma_f64 v[47:48], v[27:28], v[43:44], -v[47:48]
	v_fma_f64 v[29:30], v[29:30], v[43:44], v[45:46]
	s_waitcnt lgkmcnt(2)
	v_mul_f64 v[49:50], v[4:5], v[25:26]
	v_mul_f64 v[51:52], v[2:3], v[25:26]
	v_add_f64 v[7:8], v[7:8], v[39:40]
	v_add_f64 v[12:13], v[12:13], v[41:42]
	s_waitcnt lgkmcnt(0)
	v_mul_f64 v[45:46], v[33:34], v[37:38]
	v_mul_f64 v[53:54], v[31:32], v[37:38]
	ds_read_b128 v[25:28], v6 offset:3072
	v_fma_f64 v[49:50], v[2:3], v[23:24], -v[49:50]
	v_fma_f64 v[23:24], v[4:5], v[23:24], v[51:52]
	v_add_f64 v[7:8], v[7:8], v[47:48]
	v_add_f64 v[12:13], v[12:13], v[29:30]
	ds_read_b128 v[2:5], v9 offset:96
	ds_read_b128 v[37:40], v6 offset:3584
	;; [unrolled: 1-line block ×3, first 2 shown]
	v_fma_f64 v[31:32], v[31:32], v[35:36], -v[45:46]
	v_fma_f64 v[33:34], v[33:34], v[35:36], v[53:54]
	v_add_nc_u32_e32 v6, 0x1000, v6
	s_waitcnt lgkmcnt(2)
	v_mul_f64 v[29:30], v[27:28], v[4:5]
	v_mul_f64 v[4:5], v[25:26], v[4:5]
	v_add_f64 v[7:8], v[7:8], v[49:50]
	v_add_f64 v[12:13], v[12:13], v[23:24]
	s_waitcnt lgkmcnt(0)
	v_mul_f64 v[23:24], v[39:40], v[43:44]
	v_mul_f64 v[35:36], v[37:38], v[43:44]
	v_fma_f64 v[25:26], v[25:26], v[2:3], -v[29:30]
	v_fma_f64 v[2:3], v[27:28], v[2:3], v[4:5]
	v_add_f64 v[4:5], v[7:8], v[31:32]
	v_add_f64 v[7:8], v[12:13], v[33:34]
	v_fma_f64 v[12:13], v[37:38], v[41:42], -v[23:24]
	v_fma_f64 v[23:24], v[39:40], v[41:42], v[35:36]
	v_add_f64 v[4:5], v[4:5], v[25:26]
	v_add_f64 v[7:8], v[7:8], v[2:3]
	;; [unrolled: 1-line block ×4, first 2 shown]
	s_cbranch_scc0 .LBB52_13
; %bb.14:                               ;   in Loop: Header=BB52_7 Depth=2
	flat_load_dwordx4 v[6:9], v[10:11]
	v_mul_f64 v[12:13], s[22:23], v[4:5]
	v_mul_f64 v[23:24], s[22:23], v[2:3]
	v_fma_f64 v[2:3], s[20:21], v[2:3], -v[12:13]
	v_fma_f64 v[4:5], s[20:21], v[4:5], v[23:24]
	s_waitcnt vmcnt(0) lgkmcnt(0)
	v_add_f64 v[2:3], v[2:3], v[6:7]
	v_add_f64 v[4:5], v[4:5], v[8:9]
	flat_store_dwordx4 v[10:11], v[2:5]
	s_branch .LBB52_6
.LBB52_15:
	s_endpgm
	.section	.rodata,"a",@progbits
	.p2align	6, 0x0
	.amdhsa_kernel _ZL24rocblas_symm_hemm_kernelILb0ELb1ELi32EPK19rocblas_complex_numIdEPKS3_PKPS1_EvbiiT2_T3_lllSA_lllT4_llli
		.amdhsa_group_segment_fixed_size 32768
		.amdhsa_private_segment_fixed_size 0
		.amdhsa_kernarg_size 384
		.amdhsa_user_sgpr_count 6
		.amdhsa_user_sgpr_private_segment_buffer 1
		.amdhsa_user_sgpr_dispatch_ptr 0
		.amdhsa_user_sgpr_queue_ptr 0
		.amdhsa_user_sgpr_kernarg_segment_ptr 1
		.amdhsa_user_sgpr_dispatch_id 0
		.amdhsa_user_sgpr_flat_scratch_init 0
		.amdhsa_user_sgpr_private_segment_size 0
		.amdhsa_wavefront_size32 1
		.amdhsa_uses_dynamic_stack 0
		.amdhsa_system_sgpr_private_segment_wavefront_offset 0
		.amdhsa_system_sgpr_workgroup_id_x 1
		.amdhsa_system_sgpr_workgroup_id_y 1
		.amdhsa_system_sgpr_workgroup_id_z 1
		.amdhsa_system_sgpr_workgroup_info 0
		.amdhsa_system_vgpr_workitem_id 1
		.amdhsa_next_free_vgpr 55
		.amdhsa_next_free_sgpr 32
		.amdhsa_reserve_vcc 1
		.amdhsa_reserve_flat_scratch 0
		.amdhsa_float_round_mode_32 0
		.amdhsa_float_round_mode_16_64 0
		.amdhsa_float_denorm_mode_32 3
		.amdhsa_float_denorm_mode_16_64 3
		.amdhsa_dx10_clamp 1
		.amdhsa_ieee_mode 1
		.amdhsa_fp16_overflow 0
		.amdhsa_workgroup_processor_mode 1
		.amdhsa_memory_ordered 1
		.amdhsa_forward_progress 1
		.amdhsa_shared_vgpr_count 0
		.amdhsa_exception_fp_ieee_invalid_op 0
		.amdhsa_exception_fp_denorm_src 0
		.amdhsa_exception_fp_ieee_div_zero 0
		.amdhsa_exception_fp_ieee_overflow 0
		.amdhsa_exception_fp_ieee_underflow 0
		.amdhsa_exception_fp_ieee_inexact 0
		.amdhsa_exception_int_div_zero 0
	.end_amdhsa_kernel
	.section	.text._ZL24rocblas_symm_hemm_kernelILb0ELb1ELi32EPK19rocblas_complex_numIdEPKS3_PKPS1_EvbiiT2_T3_lllSA_lllT4_llli,"axG",@progbits,_ZL24rocblas_symm_hemm_kernelILb0ELb1ELi32EPK19rocblas_complex_numIdEPKS3_PKPS1_EvbiiT2_T3_lllSA_lllT4_llli,comdat
.Lfunc_end52:
	.size	_ZL24rocblas_symm_hemm_kernelILb0ELb1ELi32EPK19rocblas_complex_numIdEPKS3_PKPS1_EvbiiT2_T3_lllSA_lllT4_llli, .Lfunc_end52-_ZL24rocblas_symm_hemm_kernelILb0ELb1ELi32EPK19rocblas_complex_numIdEPKS3_PKPS1_EvbiiT2_T3_lllSA_lllT4_llli
                                        ; -- End function
	.set _ZL24rocblas_symm_hemm_kernelILb0ELb1ELi32EPK19rocblas_complex_numIdEPKS3_PKPS1_EvbiiT2_T3_lllSA_lllT4_llli.num_vgpr, 55
	.set _ZL24rocblas_symm_hemm_kernelILb0ELb1ELi32EPK19rocblas_complex_numIdEPKS3_PKPS1_EvbiiT2_T3_lllSA_lllT4_llli.num_agpr, 0
	.set _ZL24rocblas_symm_hemm_kernelILb0ELb1ELi32EPK19rocblas_complex_numIdEPKS3_PKPS1_EvbiiT2_T3_lllSA_lllT4_llli.numbered_sgpr, 32
	.set _ZL24rocblas_symm_hemm_kernelILb0ELb1ELi32EPK19rocblas_complex_numIdEPKS3_PKPS1_EvbiiT2_T3_lllSA_lllT4_llli.num_named_barrier, 0
	.set _ZL24rocblas_symm_hemm_kernelILb0ELb1ELi32EPK19rocblas_complex_numIdEPKS3_PKPS1_EvbiiT2_T3_lllSA_lllT4_llli.private_seg_size, 0
	.set _ZL24rocblas_symm_hemm_kernelILb0ELb1ELi32EPK19rocblas_complex_numIdEPKS3_PKPS1_EvbiiT2_T3_lllSA_lllT4_llli.uses_vcc, 1
	.set _ZL24rocblas_symm_hemm_kernelILb0ELb1ELi32EPK19rocblas_complex_numIdEPKS3_PKPS1_EvbiiT2_T3_lllSA_lllT4_llli.uses_flat_scratch, 0
	.set _ZL24rocblas_symm_hemm_kernelILb0ELb1ELi32EPK19rocblas_complex_numIdEPKS3_PKPS1_EvbiiT2_T3_lllSA_lllT4_llli.has_dyn_sized_stack, 0
	.set _ZL24rocblas_symm_hemm_kernelILb0ELb1ELi32EPK19rocblas_complex_numIdEPKS3_PKPS1_EvbiiT2_T3_lllSA_lllT4_llli.has_recursion, 0
	.set _ZL24rocblas_symm_hemm_kernelILb0ELb1ELi32EPK19rocblas_complex_numIdEPKS3_PKPS1_EvbiiT2_T3_lllSA_lllT4_llli.has_indirect_call, 0
	.section	.AMDGPU.csdata,"",@progbits
; Kernel info:
; codeLenInByte = 1472
; TotalNumSgprs: 34
; NumVgprs: 55
; ScratchSize: 0
; MemoryBound: 1
; FloatMode: 240
; IeeeMode: 1
; LDSByteSize: 32768 bytes/workgroup (compile time only)
; SGPRBlocks: 0
; VGPRBlocks: 6
; NumSGPRsForWavesPerEU: 34
; NumVGPRsForWavesPerEU: 55
; Occupancy: 16
; WaveLimiterHint : 1
; COMPUTE_PGM_RSRC2:SCRATCH_EN: 0
; COMPUTE_PGM_RSRC2:USER_SGPR: 6
; COMPUTE_PGM_RSRC2:TRAP_HANDLER: 0
; COMPUTE_PGM_RSRC2:TGID_X_EN: 1
; COMPUTE_PGM_RSRC2:TGID_Y_EN: 1
; COMPUTE_PGM_RSRC2:TGID_Z_EN: 1
; COMPUTE_PGM_RSRC2:TIDIG_COMP_CNT: 1
	.section	.text._ZL25rocblas_symm_scale_kernelILi128ELi8E19rocblas_complex_numIdEPKPS1_EviiT1_T2_llli,"axG",@progbits,_ZL25rocblas_symm_scale_kernelILi128ELi8E19rocblas_complex_numIdEPKPS1_EviiT1_T2_llli,comdat
	.globl	_ZL25rocblas_symm_scale_kernelILi128ELi8E19rocblas_complex_numIdEPKPS1_EviiT1_T2_llli ; -- Begin function _ZL25rocblas_symm_scale_kernelILi128ELi8E19rocblas_complex_numIdEPKPS1_EviiT1_T2_llli
	.p2align	8
	.type	_ZL25rocblas_symm_scale_kernelILi128ELi8E19rocblas_complex_numIdEPKPS1_EviiT1_T2_llli,@function
_ZL25rocblas_symm_scale_kernelILi128ELi8E19rocblas_complex_numIdEPKPS1_EviiT1_T2_llli: ; @_ZL25rocblas_symm_scale_kernelILi128ELi8E19rocblas_complex_numIdEPKPS1_EviiT1_T2_llli
; %bb.0:
	s_load_dwordx8 s[12:19], s[4:5], 0x8
	s_waitcnt lgkmcnt(0)
	v_cmp_eq_f64_e64 s0, s[12:13], 1.0
	v_cmp_eq_f64_e64 s1, s[14:15], 0
	s_and_b32 s0, s0, s1
	s_and_b32 vcc_lo, exec_lo, s0
	s_cbranch_vccnz .LBB53_6
; %bb.1:
	s_load_dwordx2 s[0:1], s[4:5], 0x0
	v_lshl_add_u32 v4, s7, 3, v1
	v_mov_b32_e32 v5, 0
	v_lshl_add_u32 v0, s6, 7, v0
	s_waitcnt lgkmcnt(0)
	s_ashr_i32 s3, s1, 31
	s_mov_b32 s2, s1
	v_cmp_gt_u32_e64 s0, s0, v0
	v_cmp_gt_i64_e32 vcc_lo, s[2:3], v[4:5]
	s_and_b32 s0, s0, vcc_lo
	s_and_saveexec_b32 s1, s0
	s_cbranch_execz .LBB53_6
; %bb.2:
	s_clause 0x1
	s_load_dwordx2 s[10:11], s[4:5], 0x28
	s_load_dword s20, s[4:5], 0x44
	s_mov_b32 s9, 0
	s_lshl_b64 s[0:1], s[8:9], 3
	v_cmp_neq_f64_e64 s8, s[12:13], 0
	s_add_u32 s0, s16, s0
	s_addc_u32 s1, s17, s1
	s_lshl_b64 s[6:7], s[18:19], 4
	s_load_dwordx2 s[4:5], s[0:1], 0x0
	v_cmp_neq_f64_e64 s0, s[14:15], 0
	s_waitcnt lgkmcnt(0)
	v_mad_u64_u32 v[2:3], null, s10, v4, 0
	s_lshl_b32 s1, s20, 3
	v_mov_b32_e32 v1, v3
	v_mad_u64_u32 v[6:7], null, s11, v4, v[1:2]
	v_mov_b32_e32 v1, v5
	s_mul_i32 s11, s11, s1
	v_lshlrev_b64 v[0:1], 4, v[0:1]
	v_mov_b32_e32 v3, v6
	v_lshlrev_b64 v[2:3], 4, v[2:3]
	v_add_co_u32 v2, vcc_lo, v2, s6
	v_add_co_ci_u32_e64 v3, null, s7, v3, vcc_lo
	s_mul_hi_u32 s6, s10, s1
	v_add_co_u32 v0, vcc_lo, v2, v0
	v_add_co_ci_u32_e64 v1, null, v3, v1, vcc_lo
	s_add_i32 s11, s6, s11
	v_add_co_u32 v6, vcc_lo, s4, v0
	v_add_co_ci_u32_e64 v7, null, s5, v1, vcc_lo
	s_mul_i32 s10, s10, s1
	s_or_b32 s6, s8, s0
	s_lshl_b64 s[4:5], s[10:11], 4
	s_inst_prefetch 0x1
	s_branch .LBB53_4
	.p2align	6
.LBB53_3:                               ;   in Loop: Header=BB53_4 Depth=1
	v_add_co_u32 v4, vcc_lo, v4, s1
	v_add_co_ci_u32_e64 v5, null, 0, v5, vcc_lo
	flat_store_dwordx4 v[6:7], v[0:3]
	v_add_co_u32 v6, s0, v6, s4
	v_cmp_le_i64_e32 vcc_lo, s[2:3], v[4:5]
	v_add_co_ci_u32_e64 v7, null, s5, v7, s0
	s_or_b32 s9, vcc_lo, s9
	s_andn2_b32 exec_lo, exec_lo, s9
	s_cbranch_execz .LBB53_6
.LBB53_4:                               ; =>This Inner Loop Header: Depth=1
	v_mov_b32_e32 v2, 0
	v_mov_b32_e32 v0, 0
	;; [unrolled: 1-line block ×4, first 2 shown]
	s_andn2_b32 vcc_lo, exec_lo, s6
	s_cbranch_vccnz .LBB53_3
; %bb.5:                                ;   in Loop: Header=BB53_4 Depth=1
	flat_load_dwordx4 v[8:11], v[6:7]
	s_waitcnt vmcnt(0) lgkmcnt(0)
	v_mul_f64 v[0:1], s[14:15], v[10:11]
	v_mul_f64 v[2:3], s[12:13], v[10:11]
	v_fma_f64 v[0:1], s[12:13], v[8:9], -v[0:1]
	v_fma_f64 v[2:3], s[14:15], v[8:9], v[2:3]
	s_branch .LBB53_3
.LBB53_6:
	s_inst_prefetch 0x2
	s_endpgm
	.section	.rodata,"a",@progbits
	.p2align	6, 0x0
	.amdhsa_kernel _ZL25rocblas_symm_scale_kernelILi128ELi8E19rocblas_complex_numIdEPKPS1_EviiT1_T2_llli
		.amdhsa_group_segment_fixed_size 0
		.amdhsa_private_segment_fixed_size 0
		.amdhsa_kernarg_size 320
		.amdhsa_user_sgpr_count 6
		.amdhsa_user_sgpr_private_segment_buffer 1
		.amdhsa_user_sgpr_dispatch_ptr 0
		.amdhsa_user_sgpr_queue_ptr 0
		.amdhsa_user_sgpr_kernarg_segment_ptr 1
		.amdhsa_user_sgpr_dispatch_id 0
		.amdhsa_user_sgpr_flat_scratch_init 0
		.amdhsa_user_sgpr_private_segment_size 0
		.amdhsa_wavefront_size32 1
		.amdhsa_uses_dynamic_stack 0
		.amdhsa_system_sgpr_private_segment_wavefront_offset 0
		.amdhsa_system_sgpr_workgroup_id_x 1
		.amdhsa_system_sgpr_workgroup_id_y 1
		.amdhsa_system_sgpr_workgroup_id_z 1
		.amdhsa_system_sgpr_workgroup_info 0
		.amdhsa_system_vgpr_workitem_id 1
		.amdhsa_next_free_vgpr 12
		.amdhsa_next_free_sgpr 21
		.amdhsa_reserve_vcc 1
		.amdhsa_reserve_flat_scratch 0
		.amdhsa_float_round_mode_32 0
		.amdhsa_float_round_mode_16_64 0
		.amdhsa_float_denorm_mode_32 3
		.amdhsa_float_denorm_mode_16_64 3
		.amdhsa_dx10_clamp 1
		.amdhsa_ieee_mode 1
		.amdhsa_fp16_overflow 0
		.amdhsa_workgroup_processor_mode 1
		.amdhsa_memory_ordered 1
		.amdhsa_forward_progress 1
		.amdhsa_shared_vgpr_count 0
		.amdhsa_exception_fp_ieee_invalid_op 0
		.amdhsa_exception_fp_denorm_src 0
		.amdhsa_exception_fp_ieee_div_zero 0
		.amdhsa_exception_fp_ieee_overflow 0
		.amdhsa_exception_fp_ieee_underflow 0
		.amdhsa_exception_fp_ieee_inexact 0
		.amdhsa_exception_int_div_zero 0
	.end_amdhsa_kernel
	.section	.text._ZL25rocblas_symm_scale_kernelILi128ELi8E19rocblas_complex_numIdEPKPS1_EviiT1_T2_llli,"axG",@progbits,_ZL25rocblas_symm_scale_kernelILi128ELi8E19rocblas_complex_numIdEPKPS1_EviiT1_T2_llli,comdat
.Lfunc_end53:
	.size	_ZL25rocblas_symm_scale_kernelILi128ELi8E19rocblas_complex_numIdEPKPS1_EviiT1_T2_llli, .Lfunc_end53-_ZL25rocblas_symm_scale_kernelILi128ELi8E19rocblas_complex_numIdEPKPS1_EviiT1_T2_llli
                                        ; -- End function
	.set _ZL25rocblas_symm_scale_kernelILi128ELi8E19rocblas_complex_numIdEPKPS1_EviiT1_T2_llli.num_vgpr, 12
	.set _ZL25rocblas_symm_scale_kernelILi128ELi8E19rocblas_complex_numIdEPKPS1_EviiT1_T2_llli.num_agpr, 0
	.set _ZL25rocblas_symm_scale_kernelILi128ELi8E19rocblas_complex_numIdEPKPS1_EviiT1_T2_llli.numbered_sgpr, 21
	.set _ZL25rocblas_symm_scale_kernelILi128ELi8E19rocblas_complex_numIdEPKPS1_EviiT1_T2_llli.num_named_barrier, 0
	.set _ZL25rocblas_symm_scale_kernelILi128ELi8E19rocblas_complex_numIdEPKPS1_EviiT1_T2_llli.private_seg_size, 0
	.set _ZL25rocblas_symm_scale_kernelILi128ELi8E19rocblas_complex_numIdEPKPS1_EviiT1_T2_llli.uses_vcc, 1
	.set _ZL25rocblas_symm_scale_kernelILi128ELi8E19rocblas_complex_numIdEPKPS1_EviiT1_T2_llli.uses_flat_scratch, 0
	.set _ZL25rocblas_symm_scale_kernelILi128ELi8E19rocblas_complex_numIdEPKPS1_EviiT1_T2_llli.has_dyn_sized_stack, 0
	.set _ZL25rocblas_symm_scale_kernelILi128ELi8E19rocblas_complex_numIdEPKPS1_EviiT1_T2_llli.has_recursion, 0
	.set _ZL25rocblas_symm_scale_kernelILi128ELi8E19rocblas_complex_numIdEPKPS1_EviiT1_T2_llli.has_indirect_call, 0
	.section	.AMDGPU.csdata,"",@progbits
; Kernel info:
; codeLenInByte = 456
; TotalNumSgprs: 23
; NumVgprs: 12
; ScratchSize: 0
; MemoryBound: 0
; FloatMode: 240
; IeeeMode: 1
; LDSByteSize: 0 bytes/workgroup (compile time only)
; SGPRBlocks: 0
; VGPRBlocks: 1
; NumSGPRsForWavesPerEU: 23
; NumVGPRsForWavesPerEU: 12
; Occupancy: 16
; WaveLimiterHint : 0
; COMPUTE_PGM_RSRC2:SCRATCH_EN: 0
; COMPUTE_PGM_RSRC2:USER_SGPR: 6
; COMPUTE_PGM_RSRC2:TRAP_HANDLER: 0
; COMPUTE_PGM_RSRC2:TGID_X_EN: 1
; COMPUTE_PGM_RSRC2:TGID_Y_EN: 1
; COMPUTE_PGM_RSRC2:TGID_Z_EN: 1
; COMPUTE_PGM_RSRC2:TIDIG_COMP_CNT: 1
	.section	.text._ZL24rocblas_symm_hemm_kernelILb0ELb0ELi32E19rocblas_complex_numIdEPKPKS1_PKPS1_EvbiiT2_T3_lllSA_lllT4_llli,"axG",@progbits,_ZL24rocblas_symm_hemm_kernelILb0ELb0ELi32E19rocblas_complex_numIdEPKPKS1_PKPS1_EvbiiT2_T3_lllSA_lllT4_llli,comdat
	.globl	_ZL24rocblas_symm_hemm_kernelILb0ELb0ELi32E19rocblas_complex_numIdEPKPKS1_PKPS1_EvbiiT2_T3_lllSA_lllT4_llli ; -- Begin function _ZL24rocblas_symm_hemm_kernelILb0ELb0ELi32E19rocblas_complex_numIdEPKPKS1_PKPS1_EvbiiT2_T3_lllSA_lllT4_llli
	.p2align	8
	.type	_ZL24rocblas_symm_hemm_kernelILb0ELb0ELi32E19rocblas_complex_numIdEPKPKS1_PKPS1_EvbiiT2_T3_lllSA_lllT4_llli,@function
_ZL24rocblas_symm_hemm_kernelILb0ELb0ELi32E19rocblas_complex_numIdEPKPKS1_PKPS1_EvbiiT2_T3_lllSA_lllT4_llli: ; @_ZL24rocblas_symm_hemm_kernelILb0ELb0ELi32E19rocblas_complex_numIdEPKPKS1_PKPS1_EvbiiT2_T3_lllSA_lllT4_llli
; %bb.0:
	s_load_dwordx8 s[12:19], s[4:5], 0x10
	s_waitcnt lgkmcnt(0)
	v_cmp_eq_f64_e64 s0, s[12:13], 0
	v_cmp_eq_f64_e64 s1, s[14:15], 0
	s_and_b32 s0, s0, s1
	s_and_b32 vcc_lo, exec_lo, s0
	s_cbranch_vccnz .LBB54_15
; %bb.1:
	s_load_dwordx4 s[20:23], s[4:5], 0x0
	s_waitcnt lgkmcnt(0)
	s_add_i32 s0, s22, -1
	s_ashr_i32 s1, s0, 31
	s_lshr_b32 s1, s1, 27
	s_add_i32 s0, s0, s1
	s_ashr_i32 s3, s0, 5
	s_cmp_gt_i32 s7, s3
	s_cbranch_scc1 .LBB54_15
; %bb.2:
	s_mov_b32 s9, 0
	v_lshl_add_u32 v10, s6, 5, v0
	s_lshl_b64 s[0:1], s[8:9], 3
	v_lshlrev_b32_e32 v15, 9, v0
	s_add_u32 s8, s16, s0
	s_addc_u32 s9, s17, s1
	s_lshl_b64 s[18:19], s[18:19], 4
	s_load_dwordx2 s[16:17], s[8:9], 0x0
	s_load_dwordx4 s[8:11], s[4:5], 0x40
	v_lshlrev_b32_e32 v2, 4, v1
	v_ashrrev_i32_e32 v11, 31, v10
	v_add_nc_u32_e32 v16, v15, v2
	v_or_b32_e32 v17, 0x4000, v2
	v_lshlrev_b64 v[2:3], 4, v[10:11]
	v_add_nc_u32_e32 v18, v17, v15
	s_waitcnt lgkmcnt(0)
	s_add_u32 s18, s16, s18
	s_addc_u32 s19, s17, s19
	s_add_u32 s8, s8, s0
	s_addc_u32 s9, s9, s1
	s_lshl_b64 s[10:11], s[10:11], 4
	s_load_dwordx2 s[8:9], s[8:9], 0x0
	s_load_dwordx4 s[28:31], s[4:5], 0x60
	s_waitcnt lgkmcnt(0)
	s_add_u32 s23, s8, s10
	s_addc_u32 s24, s9, s11
	s_add_u32 s0, s28, s0
	s_addc_u32 s1, s29, s1
	s_bitcmp1_b32 s20, 0
	s_load_dwordx2 s[26:27], s[0:1], 0x0
	s_clause 0x3
	s_load_dwordx2 s[8:9], s[4:5], 0x30
	s_load_dwordx2 s[10:11], s[4:5], 0x50
	s_load_dwordx2 s[16:17], s[4:5], 0x70
	s_load_dword s4, s[4:5], 0x8c
	s_cselect_b32 s1, -1, 0
	s_lshl_b64 s[28:29], s[30:31], 4
	v_cmp_gt_i32_e64 s0, s21, v10
	s_waitcnt lgkmcnt(0)
	s_add_u32 s2, s26, s28
	s_addc_u32 s5, s27, s29
	v_add_co_u32 v19, vcc_lo, s2, v2
	v_add_co_ci_u32_e64 v20, null, s5, v3, vcc_lo
	s_cmp_gt_i32 s21, 0
	s_cselect_b32 s5, -1, 0
	s_branch .LBB54_4
.LBB54_3:                               ;   in Loop: Header=BB54_4 Depth=1
	s_add_i32 s7, s7, s4
	s_cmp_gt_i32 s7, s3
	s_cbranch_scc1 .LBB54_15
.LBB54_4:                               ; =>This Loop Header: Depth=1
                                        ;     Child Loop BB54_7 Depth 2
                                        ;       Child Loop BB54_13 Depth 3
	s_andn2_b32 vcc_lo, exec_lo, s5
	s_cbranch_vccnz .LBB54_3
; %bb.5:                                ;   in Loop: Header=BB54_4 Depth=1
	v_lshl_add_u32 v6, s7, 5, v1
	s_mov_b32 s20, 0
	v_ashrrev_i32_e32 v7, 31, v6
	v_mul_lo_u32 v8, s11, v6
	v_mad_u64_u32 v[2:3], null, s10, v6, 0
	v_mul_lo_u32 v11, s17, v6
	v_mul_lo_u32 v9, s10, v7
	v_mad_u64_u32 v[4:5], null, s16, v6, 0
	v_mul_lo_u32 v7, s16, v7
	v_cmp_gt_i32_e32 vcc_lo, s22, v6
	v_add3_u32 v3, v3, v9, v8
	s_and_b32 s6, s0, vcc_lo
	v_add3_u32 v5, v5, v7, v11
	v_lshlrev_b64 v[2:3], 4, v[2:3]
	v_lshlrev_b64 v[4:5], 4, v[4:5]
	v_add_co_u32 v21, s2, s23, v2
	v_add_co_ci_u32_e64 v22, null, s24, v3, s2
	v_add_co_u32 v11, s2, v19, v4
	v_add_co_ci_u32_e64 v12, null, v20, v5, s2
	s_branch .LBB54_7
.LBB54_6:                               ;   in Loop: Header=BB54_7 Depth=2
	s_or_b32 exec_lo, exec_lo, s2
	s_add_i32 s20, s20, 32
	s_waitcnt lgkmcnt(0)
	s_waitcnt_vscnt null, 0x0
	s_cmp_ge_i32 s20, s21
	s_barrier
	buffer_gl0_inv
	s_cbranch_scc1 .LBB54_3
.LBB54_7:                               ;   Parent Loop BB54_4 Depth=1
                                        ; =>  This Loop Header: Depth=2
                                        ;       Child Loop BB54_13 Depth 3
	v_add_nc_u32_e32 v2, s20, v1
	v_mov_b32_e32 v6, 0
	v_mov_b32_e32 v8, 0
	;; [unrolled: 1-line block ×4, first 2 shown]
	v_cndmask_b32_e64 v3, v2, v10, s1
	v_cndmask_b32_e64 v4, v10, v2, s1
	s_mov_b32 s25, exec_lo
	v_cmp_gt_i32_e64 s2, v3, v4
	v_cndmask_b32_e64 v4, v10, v2, s2
	v_cndmask_b32_e64 v5, v2, v10, s2
	v_mov_b32_e32 v2, 0
	v_mov_b32_e32 v3, 0
	v_max_i32_e32 v13, v4, v5
	v_cmpx_gt_i32_e64 s21, v13
	s_cbranch_execz .LBB54_9
; %bb.8:                                ;   in Loop: Header=BB54_7 Depth=2
	v_ashrrev_i32_e32 v8, 31, v5
	v_mul_lo_u32 v9, s9, v5
	v_mad_u64_u32 v[6:7], null, s8, v5, 0
	v_mul_lo_u32 v5, s8, v8
	v_add3_u32 v7, v7, v5, v9
	v_ashrrev_i32_e32 v5, 31, v4
	v_lshlrev_b64 v[6:7], 4, v[6:7]
	v_lshlrev_b64 v[4:5], 4, v[4:5]
	v_add_co_u32 v6, s2, s18, v6
	v_add_co_ci_u32_e64 v7, null, s19, v7, s2
	v_add_co_u32 v4, s2, v6, v4
	v_add_co_ci_u32_e64 v5, null, v7, v5, s2
	flat_load_dwordx4 v[6:9], v[4:5]
.LBB54_9:                               ;   in Loop: Header=BB54_7 Depth=2
	s_or_b32 exec_lo, exec_lo, s25
	v_add_nc_u32_e32 v13, s20, v0
	v_mov_b32_e32 v4, 0
	v_mov_b32_e32 v5, 0
	s_waitcnt vmcnt(0) lgkmcnt(0)
	ds_write_b128 v16, v[6:9]
	v_cmp_gt_i32_e64 s2, s21, v13
	s_and_b32 s2, s2, vcc_lo
	s_and_saveexec_b32 s25, s2
	s_cbranch_execz .LBB54_11
; %bb.10:                               ;   in Loop: Header=BB54_7 Depth=2
	v_ashrrev_i32_e32 v14, 31, v13
	v_lshlrev_b64 v[2:3], 4, v[13:14]
	v_add_co_u32 v2, s2, v21, v2
	v_add_co_ci_u32_e64 v3, null, v22, v3, s2
	flat_load_dwordx4 v[2:5], v[2:3]
.LBB54_11:                              ;   in Loop: Header=BB54_7 Depth=2
	s_or_b32 exec_lo, exec_lo, s25
	s_waitcnt vmcnt(0) lgkmcnt(0)
	ds_write_b128 v18, v[2:5]
	s_waitcnt lgkmcnt(0)
	s_barrier
	buffer_gl0_inv
	s_and_saveexec_b32 s2, s6
	s_cbranch_execz .LBB54_6
; %bb.12:                               ;   in Loop: Header=BB54_7 Depth=2
	v_mov_b32_e32 v2, 0
	v_mov_b32_e32 v4, 0
	v_mov_b32_e32 v3, 0
	v_mov_b32_e32 v5, 0
	v_mov_b32_e32 v6, v17
	s_mov_b32 s25, 0
.LBB54_13:                              ;   Parent Loop BB54_4 Depth=1
                                        ;     Parent Loop BB54_7 Depth=2
                                        ; =>    This Inner Loop Header: Depth=3
	v_add_nc_u32_e32 v9, s25, v15
	s_addk_i32 s25, 0x80
	ds_read_b128 v[23:26], v6
	ds_read_b128 v[27:30], v9
	ds_read_b128 v[31:34], v6 offset:512
	ds_read_b128 v[35:38], v9 offset:16
	;; [unrolled: 1-line block ×3, first 2 shown]
	s_cmpk_eq_i32 s25, 0x200
	s_waitcnt lgkmcnt(3)
	v_mul_f64 v[7:8], v[25:26], v[29:30]
	v_mul_f64 v[13:14], v[23:24], v[29:30]
	s_waitcnt lgkmcnt(1)
	v_mul_f64 v[47:48], v[33:34], v[37:38]
	v_mul_f64 v[37:38], v[31:32], v[37:38]
	v_fma_f64 v[7:8], v[23:24], v[27:28], -v[7:8]
	v_fma_f64 v[13:14], v[25:26], v[27:28], v[13:14]
	ds_read_b128 v[23:26], v9 offset:32
	ds_read_b128 v[27:30], v6 offset:1536
	ds_read_b128 v[43:46], v9 offset:48
	v_fma_f64 v[31:32], v[31:32], v[35:36], -v[47:48]
	v_fma_f64 v[33:34], v[33:34], v[35:36], v[37:38]
	s_waitcnt lgkmcnt(2)
	v_mul_f64 v[49:50], v[41:42], v[25:26]
	v_mul_f64 v[25:26], v[39:40], v[25:26]
	v_add_f64 v[7:8], v[2:3], v[7:8]
	v_add_f64 v[13:14], v[4:5], v[13:14]
	s_waitcnt lgkmcnt(0)
	v_mul_f64 v[47:48], v[29:30], v[45:46]
	v_mul_f64 v[45:46], v[27:28], v[45:46]
	ds_read_b128 v[2:5], v6 offset:2048
	v_fma_f64 v[39:40], v[39:40], v[23:24], -v[49:50]
	v_fma_f64 v[41:42], v[41:42], v[23:24], v[25:26]
	v_add_f64 v[7:8], v[7:8], v[31:32]
	v_add_f64 v[13:14], v[13:14], v[33:34]
	ds_read_b128 v[23:26], v9 offset:64
	ds_read_b128 v[31:34], v6 offset:2560
	;; [unrolled: 1-line block ×3, first 2 shown]
	v_fma_f64 v[47:48], v[27:28], v[43:44], -v[47:48]
	v_fma_f64 v[29:30], v[29:30], v[43:44], v[45:46]
	s_waitcnt lgkmcnt(2)
	v_mul_f64 v[49:50], v[4:5], v[25:26]
	v_mul_f64 v[51:52], v[2:3], v[25:26]
	v_add_f64 v[7:8], v[7:8], v[39:40]
	v_add_f64 v[13:14], v[13:14], v[41:42]
	s_waitcnt lgkmcnt(0)
	v_mul_f64 v[45:46], v[33:34], v[37:38]
	v_mul_f64 v[53:54], v[31:32], v[37:38]
	ds_read_b128 v[25:28], v6 offset:3072
	v_fma_f64 v[49:50], v[2:3], v[23:24], -v[49:50]
	v_fma_f64 v[23:24], v[4:5], v[23:24], v[51:52]
	v_add_f64 v[7:8], v[7:8], v[47:48]
	v_add_f64 v[13:14], v[13:14], v[29:30]
	ds_read_b128 v[2:5], v9 offset:96
	ds_read_b128 v[37:40], v6 offset:3584
	;; [unrolled: 1-line block ×3, first 2 shown]
	v_fma_f64 v[31:32], v[31:32], v[35:36], -v[45:46]
	v_fma_f64 v[33:34], v[33:34], v[35:36], v[53:54]
	v_add_nc_u32_e32 v6, 0x1000, v6
	s_waitcnt lgkmcnt(2)
	v_mul_f64 v[29:30], v[27:28], v[4:5]
	v_mul_f64 v[4:5], v[25:26], v[4:5]
	v_add_f64 v[7:8], v[7:8], v[49:50]
	v_add_f64 v[13:14], v[13:14], v[23:24]
	s_waitcnt lgkmcnt(0)
	v_mul_f64 v[23:24], v[39:40], v[43:44]
	v_mul_f64 v[35:36], v[37:38], v[43:44]
	v_fma_f64 v[25:26], v[25:26], v[2:3], -v[29:30]
	v_fma_f64 v[2:3], v[27:28], v[2:3], v[4:5]
	v_add_f64 v[4:5], v[7:8], v[31:32]
	v_add_f64 v[7:8], v[13:14], v[33:34]
	v_fma_f64 v[13:14], v[37:38], v[41:42], -v[23:24]
	v_fma_f64 v[23:24], v[39:40], v[41:42], v[35:36]
	v_add_f64 v[4:5], v[4:5], v[25:26]
	v_add_f64 v[7:8], v[7:8], v[2:3]
	;; [unrolled: 1-line block ×4, first 2 shown]
	s_cbranch_scc0 .LBB54_13
; %bb.14:                               ;   in Loop: Header=BB54_7 Depth=2
	flat_load_dwordx4 v[6:9], v[11:12]
	v_mul_f64 v[13:14], s[14:15], v[4:5]
	v_mul_f64 v[23:24], s[14:15], v[2:3]
	v_fma_f64 v[2:3], s[12:13], v[2:3], -v[13:14]
	v_fma_f64 v[4:5], s[12:13], v[4:5], v[23:24]
	s_waitcnt vmcnt(0) lgkmcnt(0)
	v_add_f64 v[2:3], v[2:3], v[6:7]
	v_add_f64 v[4:5], v[4:5], v[8:9]
	flat_store_dwordx4 v[11:12], v[2:5]
	s_branch .LBB54_6
.LBB54_15:
	s_endpgm
	.section	.rodata,"a",@progbits
	.p2align	6, 0x0
	.amdhsa_kernel _ZL24rocblas_symm_hemm_kernelILb0ELb0ELi32E19rocblas_complex_numIdEPKPKS1_PKPS1_EvbiiT2_T3_lllSA_lllT4_llli
		.amdhsa_group_segment_fixed_size 32768
		.amdhsa_private_segment_fixed_size 0
		.amdhsa_kernarg_size 392
		.amdhsa_user_sgpr_count 6
		.amdhsa_user_sgpr_private_segment_buffer 1
		.amdhsa_user_sgpr_dispatch_ptr 0
		.amdhsa_user_sgpr_queue_ptr 0
		.amdhsa_user_sgpr_kernarg_segment_ptr 1
		.amdhsa_user_sgpr_dispatch_id 0
		.amdhsa_user_sgpr_flat_scratch_init 0
		.amdhsa_user_sgpr_private_segment_size 0
		.amdhsa_wavefront_size32 1
		.amdhsa_uses_dynamic_stack 0
		.amdhsa_system_sgpr_private_segment_wavefront_offset 0
		.amdhsa_system_sgpr_workgroup_id_x 1
		.amdhsa_system_sgpr_workgroup_id_y 1
		.amdhsa_system_sgpr_workgroup_id_z 1
		.amdhsa_system_sgpr_workgroup_info 0
		.amdhsa_system_vgpr_workitem_id 1
		.amdhsa_next_free_vgpr 55
		.amdhsa_next_free_sgpr 32
		.amdhsa_reserve_vcc 1
		.amdhsa_reserve_flat_scratch 0
		.amdhsa_float_round_mode_32 0
		.amdhsa_float_round_mode_16_64 0
		.amdhsa_float_denorm_mode_32 3
		.amdhsa_float_denorm_mode_16_64 3
		.amdhsa_dx10_clamp 1
		.amdhsa_ieee_mode 1
		.amdhsa_fp16_overflow 0
		.amdhsa_workgroup_processor_mode 1
		.amdhsa_memory_ordered 1
		.amdhsa_forward_progress 1
		.amdhsa_shared_vgpr_count 0
		.amdhsa_exception_fp_ieee_invalid_op 0
		.amdhsa_exception_fp_denorm_src 0
		.amdhsa_exception_fp_ieee_div_zero 0
		.amdhsa_exception_fp_ieee_overflow 0
		.amdhsa_exception_fp_ieee_underflow 0
		.amdhsa_exception_fp_ieee_inexact 0
		.amdhsa_exception_int_div_zero 0
	.end_amdhsa_kernel
	.section	.text._ZL24rocblas_symm_hemm_kernelILb0ELb0ELi32E19rocblas_complex_numIdEPKPKS1_PKPS1_EvbiiT2_T3_lllSA_lllT4_llli,"axG",@progbits,_ZL24rocblas_symm_hemm_kernelILb0ELb0ELi32E19rocblas_complex_numIdEPKPKS1_PKPS1_EvbiiT2_T3_lllSA_lllT4_llli,comdat
.Lfunc_end54:
	.size	_ZL24rocblas_symm_hemm_kernelILb0ELb0ELi32E19rocblas_complex_numIdEPKPKS1_PKPS1_EvbiiT2_T3_lllSA_lllT4_llli, .Lfunc_end54-_ZL24rocblas_symm_hemm_kernelILb0ELb0ELi32E19rocblas_complex_numIdEPKPKS1_PKPS1_EvbiiT2_T3_lllSA_lllT4_llli
                                        ; -- End function
	.set _ZL24rocblas_symm_hemm_kernelILb0ELb0ELi32E19rocblas_complex_numIdEPKPKS1_PKPS1_EvbiiT2_T3_lllSA_lllT4_llli.num_vgpr, 55
	.set _ZL24rocblas_symm_hemm_kernelILb0ELb0ELi32E19rocblas_complex_numIdEPKPKS1_PKPS1_EvbiiT2_T3_lllSA_lllT4_llli.num_agpr, 0
	.set _ZL24rocblas_symm_hemm_kernelILb0ELb0ELi32E19rocblas_complex_numIdEPKPKS1_PKPS1_EvbiiT2_T3_lllSA_lllT4_llli.numbered_sgpr, 32
	.set _ZL24rocblas_symm_hemm_kernelILb0ELb0ELi32E19rocblas_complex_numIdEPKPKS1_PKPS1_EvbiiT2_T3_lllSA_lllT4_llli.num_named_barrier, 0
	.set _ZL24rocblas_symm_hemm_kernelILb0ELb0ELi32E19rocblas_complex_numIdEPKPKS1_PKPS1_EvbiiT2_T3_lllSA_lllT4_llli.private_seg_size, 0
	.set _ZL24rocblas_symm_hemm_kernelILb0ELb0ELi32E19rocblas_complex_numIdEPKPKS1_PKPS1_EvbiiT2_T3_lllSA_lllT4_llli.uses_vcc, 1
	.set _ZL24rocblas_symm_hemm_kernelILb0ELb0ELi32E19rocblas_complex_numIdEPKPKS1_PKPS1_EvbiiT2_T3_lllSA_lllT4_llli.uses_flat_scratch, 0
	.set _ZL24rocblas_symm_hemm_kernelILb0ELb0ELi32E19rocblas_complex_numIdEPKPKS1_PKPS1_EvbiiT2_T3_lllSA_lllT4_llli.has_dyn_sized_stack, 0
	.set _ZL24rocblas_symm_hemm_kernelILb0ELb0ELi32E19rocblas_complex_numIdEPKPKS1_PKPS1_EvbiiT2_T3_lllSA_lllT4_llli.has_recursion, 0
	.set _ZL24rocblas_symm_hemm_kernelILb0ELb0ELi32E19rocblas_complex_numIdEPKPKS1_PKPS1_EvbiiT2_T3_lllSA_lllT4_llli.has_indirect_call, 0
	.section	.AMDGPU.csdata,"",@progbits
; Kernel info:
; codeLenInByte = 1496
; TotalNumSgprs: 34
; NumVgprs: 55
; ScratchSize: 0
; MemoryBound: 1
; FloatMode: 240
; IeeeMode: 1
; LDSByteSize: 32768 bytes/workgroup (compile time only)
; SGPRBlocks: 0
; VGPRBlocks: 6
; NumSGPRsForWavesPerEU: 34
; NumVGPRsForWavesPerEU: 55
; Occupancy: 16
; WaveLimiterHint : 1
; COMPUTE_PGM_RSRC2:SCRATCH_EN: 0
; COMPUTE_PGM_RSRC2:USER_SGPR: 6
; COMPUTE_PGM_RSRC2:TRAP_HANDLER: 0
; COMPUTE_PGM_RSRC2:TGID_X_EN: 1
; COMPUTE_PGM_RSRC2:TGID_Y_EN: 1
; COMPUTE_PGM_RSRC2:TGID_Z_EN: 1
; COMPUTE_PGM_RSRC2:TIDIG_COMP_CNT: 1
	.section	.text._ZL24rocblas_symm_hemm_kernelILb0ELb1ELi32E19rocblas_complex_numIdEPKPKS1_PKPS1_EvbiiT2_T3_lllSA_lllT4_llli,"axG",@progbits,_ZL24rocblas_symm_hemm_kernelILb0ELb1ELi32E19rocblas_complex_numIdEPKPKS1_PKPS1_EvbiiT2_T3_lllSA_lllT4_llli,comdat
	.globl	_ZL24rocblas_symm_hemm_kernelILb0ELb1ELi32E19rocblas_complex_numIdEPKPKS1_PKPS1_EvbiiT2_T3_lllSA_lllT4_llli ; -- Begin function _ZL24rocblas_symm_hemm_kernelILb0ELb1ELi32E19rocblas_complex_numIdEPKPKS1_PKPS1_EvbiiT2_T3_lllSA_lllT4_llli
	.p2align	8
	.type	_ZL24rocblas_symm_hemm_kernelILb0ELb1ELi32E19rocblas_complex_numIdEPKPKS1_PKPS1_EvbiiT2_T3_lllSA_lllT4_llli,@function
_ZL24rocblas_symm_hemm_kernelILb0ELb1ELi32E19rocblas_complex_numIdEPKPKS1_PKPS1_EvbiiT2_T3_lllSA_lllT4_llli: ; @_ZL24rocblas_symm_hemm_kernelILb0ELb1ELi32E19rocblas_complex_numIdEPKPKS1_PKPS1_EvbiiT2_T3_lllSA_lllT4_llli
; %bb.0:
	s_load_dwordx8 s[12:19], s[4:5], 0x10
	s_waitcnt lgkmcnt(0)
	v_cmp_eq_f64_e64 s0, s[12:13], 0
	v_cmp_eq_f64_e64 s1, s[14:15], 0
	s_and_b32 s0, s0, s1
	s_and_b32 vcc_lo, exec_lo, s0
	s_cbranch_vccnz .LBB55_15
; %bb.1:
	s_load_dwordx4 s[20:23], s[4:5], 0x0
	s_waitcnt lgkmcnt(0)
	s_add_i32 s0, s22, -1
	s_ashr_i32 s1, s0, 31
	s_lshr_b32 s1, s1, 27
	s_add_i32 s0, s0, s1
	s_ashr_i32 s23, s0, 5
	s_cmp_gt_i32 s7, s23
	s_cbranch_scc1 .LBB55_15
; %bb.2:
	s_mov_b32 s9, 0
	v_lshl_add_u32 v2, s6, 5, v0
	s_lshl_b64 s[26:27], s[8:9], 3
	v_lshlrev_b32_e32 v4, 4, v1
	s_add_u32 s0, s16, s26
	s_addc_u32 s1, s17, s27
	s_lshl_b64 s[18:19], s[18:19], 4
	s_load_dwordx2 s[16:17], s[0:1], 0x0
	s_clause 0x1
	s_load_dwordx4 s[0:3], s[4:5], 0x40
	s_load_dwordx4 s[8:11], s[4:5], 0x60
	v_ashrrev_i32_e32 v3, 31, v2
	v_lshlrev_b32_e32 v14, 9, v0
	v_or_b32_e32 v16, 0x4000, v4
	v_add_nc_u32_e32 v15, v14, v4
	v_add_nc_u32_e32 v17, v16, v14
	s_waitcnt lgkmcnt(0)
	s_add_u32 s24, s16, s18
	s_addc_u32 s25, s17, s19
	s_add_u32 s0, s0, s26
	s_addc_u32 s1, s1, s27
	;; [unrolled: 2-line block ×3, first 2 shown]
	s_bitcmp1_b32 s20, 0
	s_load_dwordx2 s[26:27], s[8:9], 0x0
	s_load_dwordx2 s[28:29], s[0:1], 0x0
	s_clause 0x3
	s_load_dwordx2 s[8:9], s[4:5], 0x30
	s_load_dwordx2 s[16:17], s[4:5], 0x50
	;; [unrolled: 1-line block ×3, first 2 shown]
	s_load_dword s4, s[4:5], 0x8c
	v_cmp_gt_i32_e64 s0, s21, v2
	v_lshlrev_b64 v[2:3], 4, v[2:3]
	s_cselect_b32 s1, -1, 0
	s_lshl_b64 s[10:11], s[10:11], 4
	s_waitcnt lgkmcnt(0)
	s_add_u32 s5, s26, s10
	s_addc_u32 s6, s27, s11
	s_lshl_b64 s[2:3], s[2:3], 4
	v_add_co_u32 v18, vcc_lo, s5, v2
	s_add_u32 s2, s28, s2
	v_add_co_ci_u32_e64 v19, null, s6, v3, vcc_lo
	s_addc_u32 s3, s29, s3
	v_add_co_u32 v20, vcc_lo, s2, v2
	v_add_co_ci_u32_e64 v21, null, s3, v3, vcc_lo
	s_cmp_gt_i32 s22, 0
	s_cselect_b32 s3, -1, 0
	s_branch .LBB55_4
.LBB55_3:                               ;   in Loop: Header=BB55_4 Depth=1
	s_add_i32 s7, s7, s4
	s_cmp_gt_i32 s7, s23
	s_cbranch_scc1 .LBB55_15
.LBB55_4:                               ; =>This Loop Header: Depth=1
                                        ;     Child Loop BB55_7 Depth 2
                                        ;       Child Loop BB55_13 Depth 3
	s_andn2_b32 vcc_lo, exec_lo, s3
	s_cbranch_vccnz .LBB55_3
; %bb.5:                                ;   in Loop: Header=BB55_4 Depth=1
	v_lshl_add_u32 v22, s7, 5, v1
	s_mov_b32 s5, 0
	v_ashrrev_i32_e32 v4, 31, v22
	v_mul_lo_u32 v5, s19, v22
	v_mad_u64_u32 v[2:3], null, s18, v22, 0
	v_cmp_gt_i32_e32 vcc_lo, s22, v22
	v_mul_lo_u32 v4, s18, v4
	v_add3_u32 v3, v3, v4, v5
	v_lshlrev_b64 v[2:3], 4, v[2:3]
	v_add_co_u32 v10, s2, v18, v2
	v_add_co_ci_u32_e64 v11, null, v19, v3, s2
	s_and_b32 s2, s0, vcc_lo
	s_branch .LBB55_7
.LBB55_6:                               ;   in Loop: Header=BB55_7 Depth=2
	s_or_b32 exec_lo, exec_lo, s6
	s_add_i32 s5, s5, 32
	s_waitcnt lgkmcnt(0)
	s_waitcnt_vscnt null, 0x0
	s_cmp_ge_i32 s5, s22
	s_barrier
	buffer_gl0_inv
	s_cbranch_scc1 .LBB55_3
.LBB55_7:                               ;   Parent Loop BB55_4 Depth=1
                                        ; =>  This Loop Header: Depth=2
                                        ;       Child Loop BB55_13 Depth 3
	v_add_nc_u32_e32 v4, s5, v1
	v_mov_b32_e32 v2, 0
	v_mov_b32_e32 v6, 0
	;; [unrolled: 1-line block ×4, first 2 shown]
	v_cmp_gt_i32_e32 vcc_lo, s22, v4
	v_mov_b32_e32 v7, 0
	v_mov_b32_e32 v9, 0
	s_and_b32 s10, s0, vcc_lo
	s_and_saveexec_b32 s6, s10
	s_cbranch_execz .LBB55_9
; %bb.8:                                ;   in Loop: Header=BB55_7 Depth=2
	v_ashrrev_i32_e32 v6, 31, v4
	v_mul_lo_u32 v7, s17, v4
	v_mad_u64_u32 v[4:5], null, s16, v4, 0
	v_mul_lo_u32 v6, s16, v6
	v_add3_u32 v5, v5, v6, v7
	v_lshlrev_b64 v[4:5], 4, v[4:5]
	v_add_co_u32 v4, vcc_lo, v20, v4
	v_add_co_ci_u32_e64 v5, null, v21, v5, vcc_lo
	flat_load_dwordx4 v[6:9], v[4:5]
.LBB55_9:                               ;   in Loop: Header=BB55_7 Depth=2
	s_or_b32 exec_lo, exec_lo, s6
	v_add_nc_u32_e32 v4, s5, v0
	s_mov_b32 s6, exec_lo
	s_waitcnt vmcnt(0) lgkmcnt(0)
	ds_write_b128 v15, v[6:9]
	v_cndmask_b32_e64 v5, v22, v4, s1
	v_cndmask_b32_e64 v12, v4, v22, s1
	v_cmp_gt_i32_e32 vcc_lo, v5, v12
	v_cndmask_b32_e32 v12, v4, v22, vcc_lo
	v_cndmask_b32_e32 v13, v22, v4, vcc_lo
	v_mov_b32_e32 v4, 0
	v_mov_b32_e32 v5, 0
	v_max_i32_e32 v23, v12, v13
	v_cmpx_gt_i32_e64 s22, v23
	s_cbranch_execz .LBB55_11
; %bb.10:                               ;   in Loop: Header=BB55_7 Depth=2
	v_ashrrev_i32_e32 v4, 31, v13
	v_mul_lo_u32 v5, s9, v13
	v_mad_u64_u32 v[2:3], null, s8, v13, 0
	v_ashrrev_i32_e32 v13, 31, v12
	v_mul_lo_u32 v4, s8, v4
	v_add3_u32 v3, v3, v4, v5
	v_lshlrev_b64 v[4:5], 4, v[12:13]
	v_lshlrev_b64 v[2:3], 4, v[2:3]
	v_add_co_u32 v2, vcc_lo, s24, v2
	v_add_co_ci_u32_e64 v3, null, s25, v3, vcc_lo
	v_add_co_u32 v2, vcc_lo, v2, v4
	v_add_co_ci_u32_e64 v3, null, v3, v5, vcc_lo
	flat_load_dwordx4 v[2:5], v[2:3]
.LBB55_11:                              ;   in Loop: Header=BB55_7 Depth=2
	s_or_b32 exec_lo, exec_lo, s6
	s_waitcnt vmcnt(0) lgkmcnt(0)
	ds_write_b128 v17, v[2:5]
	s_waitcnt lgkmcnt(0)
	s_barrier
	buffer_gl0_inv
	s_and_saveexec_b32 s6, s2
	s_cbranch_execz .LBB55_6
; %bb.12:                               ;   in Loop: Header=BB55_7 Depth=2
	v_mov_b32_e32 v2, 0
	v_mov_b32_e32 v4, 0
	;; [unrolled: 1-line block ×5, first 2 shown]
	s_mov_b32 s10, 0
.LBB55_13:                              ;   Parent Loop BB55_4 Depth=1
                                        ;     Parent Loop BB55_7 Depth=2
                                        ; =>    This Inner Loop Header: Depth=3
	v_add_nc_u32_e32 v9, s10, v14
	s_addk_i32 s10, 0x80
	ds_read_b128 v[23:26], v6
	ds_read_b128 v[27:30], v9
	ds_read_b128 v[31:34], v6 offset:512
	ds_read_b128 v[35:38], v9 offset:16
	;; [unrolled: 1-line block ×3, first 2 shown]
	s_cmpk_eq_i32 s10, 0x200
	s_waitcnt lgkmcnt(3)
	v_mul_f64 v[7:8], v[25:26], v[29:30]
	v_mul_f64 v[12:13], v[23:24], v[29:30]
	s_waitcnt lgkmcnt(1)
	v_mul_f64 v[47:48], v[33:34], v[37:38]
	v_mul_f64 v[37:38], v[31:32], v[37:38]
	v_fma_f64 v[7:8], v[23:24], v[27:28], -v[7:8]
	v_fma_f64 v[12:13], v[25:26], v[27:28], v[12:13]
	ds_read_b128 v[23:26], v9 offset:32
	ds_read_b128 v[27:30], v6 offset:1536
	;; [unrolled: 1-line block ×3, first 2 shown]
	v_fma_f64 v[31:32], v[31:32], v[35:36], -v[47:48]
	v_fma_f64 v[33:34], v[33:34], v[35:36], v[37:38]
	s_waitcnt lgkmcnt(2)
	v_mul_f64 v[49:50], v[41:42], v[25:26]
	v_mul_f64 v[25:26], v[39:40], v[25:26]
	v_add_f64 v[7:8], v[2:3], v[7:8]
	v_add_f64 v[12:13], v[4:5], v[12:13]
	s_waitcnt lgkmcnt(0)
	v_mul_f64 v[47:48], v[29:30], v[45:46]
	v_mul_f64 v[45:46], v[27:28], v[45:46]
	ds_read_b128 v[2:5], v6 offset:2048
	v_fma_f64 v[39:40], v[39:40], v[23:24], -v[49:50]
	v_fma_f64 v[41:42], v[41:42], v[23:24], v[25:26]
	v_add_f64 v[7:8], v[7:8], v[31:32]
	v_add_f64 v[12:13], v[12:13], v[33:34]
	ds_read_b128 v[23:26], v9 offset:64
	ds_read_b128 v[31:34], v6 offset:2560
	ds_read_b128 v[35:38], v9 offset:80
	v_fma_f64 v[47:48], v[27:28], v[43:44], -v[47:48]
	v_fma_f64 v[29:30], v[29:30], v[43:44], v[45:46]
	s_waitcnt lgkmcnt(2)
	v_mul_f64 v[49:50], v[4:5], v[25:26]
	v_mul_f64 v[51:52], v[2:3], v[25:26]
	v_add_f64 v[7:8], v[7:8], v[39:40]
	v_add_f64 v[12:13], v[12:13], v[41:42]
	s_waitcnt lgkmcnt(0)
	v_mul_f64 v[45:46], v[33:34], v[37:38]
	v_mul_f64 v[53:54], v[31:32], v[37:38]
	ds_read_b128 v[25:28], v6 offset:3072
	v_fma_f64 v[49:50], v[2:3], v[23:24], -v[49:50]
	v_fma_f64 v[23:24], v[4:5], v[23:24], v[51:52]
	v_add_f64 v[7:8], v[7:8], v[47:48]
	v_add_f64 v[12:13], v[12:13], v[29:30]
	ds_read_b128 v[2:5], v9 offset:96
	ds_read_b128 v[37:40], v6 offset:3584
	;; [unrolled: 1-line block ×3, first 2 shown]
	v_fma_f64 v[31:32], v[31:32], v[35:36], -v[45:46]
	v_fma_f64 v[33:34], v[33:34], v[35:36], v[53:54]
	v_add_nc_u32_e32 v6, 0x1000, v6
	s_waitcnt lgkmcnt(2)
	v_mul_f64 v[29:30], v[27:28], v[4:5]
	v_mul_f64 v[4:5], v[25:26], v[4:5]
	v_add_f64 v[7:8], v[7:8], v[49:50]
	v_add_f64 v[12:13], v[12:13], v[23:24]
	s_waitcnt lgkmcnt(0)
	v_mul_f64 v[23:24], v[39:40], v[43:44]
	v_mul_f64 v[35:36], v[37:38], v[43:44]
	v_fma_f64 v[25:26], v[25:26], v[2:3], -v[29:30]
	v_fma_f64 v[2:3], v[27:28], v[2:3], v[4:5]
	v_add_f64 v[4:5], v[7:8], v[31:32]
	v_add_f64 v[7:8], v[12:13], v[33:34]
	v_fma_f64 v[12:13], v[37:38], v[41:42], -v[23:24]
	v_fma_f64 v[23:24], v[39:40], v[41:42], v[35:36]
	v_add_f64 v[4:5], v[4:5], v[25:26]
	v_add_f64 v[7:8], v[7:8], v[2:3]
	;; [unrolled: 1-line block ×4, first 2 shown]
	s_cbranch_scc0 .LBB55_13
; %bb.14:                               ;   in Loop: Header=BB55_7 Depth=2
	flat_load_dwordx4 v[6:9], v[10:11]
	v_mul_f64 v[12:13], s[14:15], v[4:5]
	v_mul_f64 v[23:24], s[14:15], v[2:3]
	v_fma_f64 v[2:3], s[12:13], v[2:3], -v[12:13]
	v_fma_f64 v[4:5], s[12:13], v[4:5], v[23:24]
	s_waitcnt vmcnt(0) lgkmcnt(0)
	v_add_f64 v[2:3], v[2:3], v[6:7]
	v_add_f64 v[4:5], v[4:5], v[8:9]
	flat_store_dwordx4 v[10:11], v[2:5]
	s_branch .LBB55_6
.LBB55_15:
	s_endpgm
	.section	.rodata,"a",@progbits
	.p2align	6, 0x0
	.amdhsa_kernel _ZL24rocblas_symm_hemm_kernelILb0ELb1ELi32E19rocblas_complex_numIdEPKPKS1_PKPS1_EvbiiT2_T3_lllSA_lllT4_llli
		.amdhsa_group_segment_fixed_size 32768
		.amdhsa_private_segment_fixed_size 0
		.amdhsa_kernarg_size 392
		.amdhsa_user_sgpr_count 6
		.amdhsa_user_sgpr_private_segment_buffer 1
		.amdhsa_user_sgpr_dispatch_ptr 0
		.amdhsa_user_sgpr_queue_ptr 0
		.amdhsa_user_sgpr_kernarg_segment_ptr 1
		.amdhsa_user_sgpr_dispatch_id 0
		.amdhsa_user_sgpr_flat_scratch_init 0
		.amdhsa_user_sgpr_private_segment_size 0
		.amdhsa_wavefront_size32 1
		.amdhsa_uses_dynamic_stack 0
		.amdhsa_system_sgpr_private_segment_wavefront_offset 0
		.amdhsa_system_sgpr_workgroup_id_x 1
		.amdhsa_system_sgpr_workgroup_id_y 1
		.amdhsa_system_sgpr_workgroup_id_z 1
		.amdhsa_system_sgpr_workgroup_info 0
		.amdhsa_system_vgpr_workitem_id 1
		.amdhsa_next_free_vgpr 55
		.amdhsa_next_free_sgpr 30
		.amdhsa_reserve_vcc 1
		.amdhsa_reserve_flat_scratch 0
		.amdhsa_float_round_mode_32 0
		.amdhsa_float_round_mode_16_64 0
		.amdhsa_float_denorm_mode_32 3
		.amdhsa_float_denorm_mode_16_64 3
		.amdhsa_dx10_clamp 1
		.amdhsa_ieee_mode 1
		.amdhsa_fp16_overflow 0
		.amdhsa_workgroup_processor_mode 1
		.amdhsa_memory_ordered 1
		.amdhsa_forward_progress 1
		.amdhsa_shared_vgpr_count 0
		.amdhsa_exception_fp_ieee_invalid_op 0
		.amdhsa_exception_fp_denorm_src 0
		.amdhsa_exception_fp_ieee_div_zero 0
		.amdhsa_exception_fp_ieee_overflow 0
		.amdhsa_exception_fp_ieee_underflow 0
		.amdhsa_exception_fp_ieee_inexact 0
		.amdhsa_exception_int_div_zero 0
	.end_amdhsa_kernel
	.section	.text._ZL24rocblas_symm_hemm_kernelILb0ELb1ELi32E19rocblas_complex_numIdEPKPKS1_PKPS1_EvbiiT2_T3_lllSA_lllT4_llli,"axG",@progbits,_ZL24rocblas_symm_hemm_kernelILb0ELb1ELi32E19rocblas_complex_numIdEPKPKS1_PKPS1_EvbiiT2_T3_lllSA_lllT4_llli,comdat
.Lfunc_end55:
	.size	_ZL24rocblas_symm_hemm_kernelILb0ELb1ELi32E19rocblas_complex_numIdEPKPKS1_PKPS1_EvbiiT2_T3_lllSA_lllT4_llli, .Lfunc_end55-_ZL24rocblas_symm_hemm_kernelILb0ELb1ELi32E19rocblas_complex_numIdEPKPKS1_PKPS1_EvbiiT2_T3_lllSA_lllT4_llli
                                        ; -- End function
	.set _ZL24rocblas_symm_hemm_kernelILb0ELb1ELi32E19rocblas_complex_numIdEPKPKS1_PKPS1_EvbiiT2_T3_lllSA_lllT4_llli.num_vgpr, 55
	.set _ZL24rocblas_symm_hemm_kernelILb0ELb1ELi32E19rocblas_complex_numIdEPKPKS1_PKPS1_EvbiiT2_T3_lllSA_lllT4_llli.num_agpr, 0
	.set _ZL24rocblas_symm_hemm_kernelILb0ELb1ELi32E19rocblas_complex_numIdEPKPKS1_PKPS1_EvbiiT2_T3_lllSA_lllT4_llli.numbered_sgpr, 30
	.set _ZL24rocblas_symm_hemm_kernelILb0ELb1ELi32E19rocblas_complex_numIdEPKPKS1_PKPS1_EvbiiT2_T3_lllSA_lllT4_llli.num_named_barrier, 0
	.set _ZL24rocblas_symm_hemm_kernelILb0ELb1ELi32E19rocblas_complex_numIdEPKPKS1_PKPS1_EvbiiT2_T3_lllSA_lllT4_llli.private_seg_size, 0
	.set _ZL24rocblas_symm_hemm_kernelILb0ELb1ELi32E19rocblas_complex_numIdEPKPKS1_PKPS1_EvbiiT2_T3_lllSA_lllT4_llli.uses_vcc, 1
	.set _ZL24rocblas_symm_hemm_kernelILb0ELb1ELi32E19rocblas_complex_numIdEPKPKS1_PKPS1_EvbiiT2_T3_lllSA_lllT4_llli.uses_flat_scratch, 0
	.set _ZL24rocblas_symm_hemm_kernelILb0ELb1ELi32E19rocblas_complex_numIdEPKPKS1_PKPS1_EvbiiT2_T3_lllSA_lllT4_llli.has_dyn_sized_stack, 0
	.set _ZL24rocblas_symm_hemm_kernelILb0ELb1ELi32E19rocblas_complex_numIdEPKPKS1_PKPS1_EvbiiT2_T3_lllSA_lllT4_llli.has_recursion, 0
	.set _ZL24rocblas_symm_hemm_kernelILb0ELb1ELi32E19rocblas_complex_numIdEPKPKS1_PKPS1_EvbiiT2_T3_lllSA_lllT4_llli.has_indirect_call, 0
	.section	.AMDGPU.csdata,"",@progbits
; Kernel info:
; codeLenInByte = 1472
; TotalNumSgprs: 32
; NumVgprs: 55
; ScratchSize: 0
; MemoryBound: 1
; FloatMode: 240
; IeeeMode: 1
; LDSByteSize: 32768 bytes/workgroup (compile time only)
; SGPRBlocks: 0
; VGPRBlocks: 6
; NumSGPRsForWavesPerEU: 32
; NumVGPRsForWavesPerEU: 55
; Occupancy: 16
; WaveLimiterHint : 1
; COMPUTE_PGM_RSRC2:SCRATCH_EN: 0
; COMPUTE_PGM_RSRC2:USER_SGPR: 6
; COMPUTE_PGM_RSRC2:TRAP_HANDLER: 0
; COMPUTE_PGM_RSRC2:TGID_X_EN: 1
; COMPUTE_PGM_RSRC2:TGID_Y_EN: 1
; COMPUTE_PGM_RSRC2:TGID_Z_EN: 1
; COMPUTE_PGM_RSRC2:TIDIG_COMP_CNT: 1
	.section	.text._ZL24rocblas_symm_hemm_kernelILb1ELb0ELi32EPK19rocblas_complex_numIfEPKS3_PKPS1_EvbiiT2_T3_lllSA_lllT4_llli,"axG",@progbits,_ZL24rocblas_symm_hemm_kernelILb1ELb0ELi32EPK19rocblas_complex_numIfEPKS3_PKPS1_EvbiiT2_T3_lllSA_lllT4_llli,comdat
	.globl	_ZL24rocblas_symm_hemm_kernelILb1ELb0ELi32EPK19rocblas_complex_numIfEPKS3_PKPS1_EvbiiT2_T3_lllSA_lllT4_llli ; -- Begin function _ZL24rocblas_symm_hemm_kernelILb1ELb0ELi32EPK19rocblas_complex_numIfEPKS3_PKPS1_EvbiiT2_T3_lllSA_lllT4_llli
	.p2align	8
	.type	_ZL24rocblas_symm_hemm_kernelILb1ELb0ELi32EPK19rocblas_complex_numIfEPKS3_PKPS1_EvbiiT2_T3_lllSA_lllT4_llli,@function
_ZL24rocblas_symm_hemm_kernelILb1ELb0ELi32EPK19rocblas_complex_numIfEPKS3_PKPS1_EvbiiT2_T3_lllSA_lllT4_llli: ; @_ZL24rocblas_symm_hemm_kernelILb1ELb0ELi32EPK19rocblas_complex_numIfEPKS3_PKPS1_EvbiiT2_T3_lllSA_lllT4_llli
; %bb.0:
	s_load_dwordx8 s[12:19], s[4:5], 0x10
	s_waitcnt lgkmcnt(0)
	s_load_dwordx2 s[10:11], s[12:13], 0x0
	s_waitcnt lgkmcnt(0)
	v_cmp_eq_f32_e64 s0, s10, 0
	v_cmp_eq_f32_e64 s1, s11, 0
	s_and_b32 s0, s0, s1
	s_and_b32 vcc_lo, exec_lo, s0
	s_cbranch_vccnz .LBB56_21
; %bb.1:
	s_load_dwordx4 s[20:23], s[4:5], 0x0
	s_waitcnt lgkmcnt(0)
	s_add_i32 s0, s22, -1
	s_ashr_i32 s1, s0, 31
	s_lshr_b32 s1, s1, 27
	s_add_i32 s0, s0, s1
	s_ashr_i32 s23, s0, 5
	s_cmp_gt_i32 s7, s23
	s_cbranch_scc1 .LBB56_21
; %bb.2:
	s_load_dwordx4 s[24:27], s[4:5], 0x38
	s_mov_b32 s9, 0
	v_lshl_add_u32 v2, s6, 5, v0
	s_lshl_b64 s[28:29], s[8:9], 3
	s_load_dwordx2 s[8:9], s[4:5], 0x48
	s_add_u32 s30, s14, s28
	s_addc_u32 s31, s15, s29
	v_ashrrev_i32_e32 v3, 31, v2
	v_mul_lo_u32 v8, s19, v2
	v_mad_u64_u32 v[4:5], null, s18, v2, 0
	v_lshlrev_b32_e32 v13, 8, v0
	v_mul_lo_u32 v9, s18, v3
	v_lshlrev_b32_e32 v6, 3, v1
	v_or_b32_e32 v14, 0x2000, v6
	v_add_nc_u32_e32 v15, v13, v6
	s_waitcnt lgkmcnt(0)
	s_add_u32 s0, s24, s28
	s_addc_u32 s1, s25, s29
	s_lshl_b64 s[24:25], s[26:27], 3
	s_load_dwordx2 s[14:15], s[0:1], 0x0
	s_clause 0x1
	s_load_dwordx4 s[0:3], s[4:5], 0x58
	s_load_dwordx2 s[12:13], s[4:5], 0x68
	s_load_dwordx2 s[26:27], s[30:31], 0x0
	s_load_dword s4, s[4:5], 0x84
	v_lshlrev_b64 v[6:7], 3, v[2:3]
	v_add3_u32 v5, v5, v9, v8
	v_add_nc_u32_e32 v16, v14, v13
	v_add_nc_u32_e32 v17, 0x800, v14
	;; [unrolled: 1-line block ×4, first 2 shown]
	v_lshlrev_b64 v[3:4], 3, v[4:5]
	s_waitcnt lgkmcnt(0)
	s_add_u32 s6, s14, s24
	s_addc_u32 s14, s15, s25
	s_add_u32 s0, s0, s28
	s_addc_u32 s1, s1, s29
	s_bitcmp1_b32 s20, 0
	s_load_dwordx2 s[24:25], s[0:1], 0x0
	s_cselect_b32 s1, -1, 0
	s_lshl_b64 s[2:3], s[2:3], 3
	v_cmp_gt_i32_e64 s0, s21, v2
	s_waitcnt lgkmcnt(0)
	s_add_u32 s5, s24, s2
	s_addc_u32 s15, s25, s3
	s_lshl_b64 s[2:3], s[16:17], 3
	v_add_co_u32 v19, vcc_lo, s5, v6
	s_add_u32 s2, s26, s2
	v_add_co_ci_u32_e64 v20, null, s15, v7, vcc_lo
	s_addc_u32 s3, s27, s3
	v_add_co_u32 v21, vcc_lo, s2, v6
	v_add_co_ci_u32_e64 v22, null, s3, v7, vcc_lo
	v_add_co_u32 v23, vcc_lo, s2, v3
	v_add_co_ci_u32_e64 v24, null, s3, v4, vcc_lo
	;; [unrolled: 2-line block ×3, first 2 shown]
	s_cmp_gt_i32 s21, 0
	s_cselect_b32 s5, -1, 0
	s_branch .LBB56_4
.LBB56_3:                               ;   in Loop: Header=BB56_4 Depth=1
	s_add_i32 s7, s7, s4
	s_cmp_gt_i32 s7, s23
	s_cbranch_scc1 .LBB56_21
.LBB56_4:                               ; =>This Loop Header: Depth=1
                                        ;     Child Loop BB56_7 Depth 2
	s_andn2_b32 vcc_lo, exec_lo, s5
	s_cbranch_vccnz .LBB56_3
; %bb.5:                                ;   in Loop: Header=BB56_4 Depth=1
	v_lshl_add_u32 v9, s7, 5, v1
	s_mov_b32 s16, 0
	v_ashrrev_i32_e32 v10, 31, v9
	v_mul_lo_u32 v11, s9, v9
	v_mad_u64_u32 v[5:6], null, s8, v9, 0
	v_mul_lo_u32 v26, s13, v9
	v_mul_lo_u32 v12, s8, v10
	v_mad_u64_u32 v[7:8], null, s12, v9, 0
	v_mul_lo_u32 v10, s12, v10
	v_cmp_gt_i32_e32 vcc_lo, s22, v9
	v_add3_u32 v6, v6, v12, v11
	s_and_b32 s15, s0, vcc_lo
	v_add3_u32 v8, v8, v10, v26
	v_lshlrev_b64 v[5:6], 3, v[5:6]
	v_lshlrev_b64 v[7:8], 3, v[7:8]
	v_add_co_u32 v26, s2, s6, v5
	v_add_co_ci_u32_e64 v27, null, s14, v6, s2
	v_add_co_u32 v5, s2, v19, v7
	v_add_co_ci_u32_e64 v6, null, v20, v8, s2
	s_branch .LBB56_7
.LBB56_6:                               ;   in Loop: Header=BB56_7 Depth=2
	s_or_b32 exec_lo, exec_lo, s2
	s_add_i32 s16, s16, 32
	s_waitcnt lgkmcnt(0)
	s_waitcnt_vscnt null, 0x0
	s_cmp_ge_i32 s16, s21
	s_barrier
	buffer_gl0_inv
	s_cbranch_scc1 .LBB56_3
.LBB56_7:                               ;   Parent Loop BB56_4 Depth=1
                                        ; =>  This Inner Loop Header: Depth=2
	v_add_nc_u32_e32 v8, s16, v1
	s_mov_b32 s17, exec_lo
	v_cndmask_b32_e64 v10, v8, v2, s1
	v_cndmask_b32_e64 v11, v2, v8, s1
	v_cmp_gt_i32_e64 s2, v10, v11
	v_cndmask_b32_e64 v7, v2, v8, s2
	v_cndmask_b32_e64 v9, v8, v2, s2
	v_cmp_le_i32_e64 s2, v10, v11
	v_mov_b32_e32 v10, 0
	v_max_i32_e32 v12, v7, v9
	v_mov_b32_e32 v7, 0
	v_mov_b32_e32 v9, 0
	v_cmpx_gt_i32_e64 s21, v12
	s_cbranch_execz .LBB56_17
; %bb.8:                                ;   in Loop: Header=BB56_7 Depth=2
                                        ; implicit-def: $vgpr10
	s_and_saveexec_b32 s3, s2
	s_xor_b32 s3, exec_lo, s3
	s_cbranch_execz .LBB56_14
; %bb.9:                                ;   in Loop: Header=BB56_7 Depth=2
	s_mov_b32 s20, exec_lo
                                        ; implicit-def: $vgpr10
	v_cmpx_ne_u32_e64 v8, v2
	s_xor_b32 s20, exec_lo, s20
	s_cbranch_execz .LBB56_11
; %bb.10:                               ;   in Loop: Header=BB56_7 Depth=2
	v_ashrrev_i32_e32 v10, 31, v8
	v_mul_lo_u32 v11, s19, v8
	v_mad_u64_u32 v[8:9], null, s18, v8, 0
	v_mul_lo_u32 v10, s18, v10
	v_add3_u32 v9, v9, v10, v11
	v_lshlrev_b64 v[8:9], 3, v[8:9]
	v_add_co_u32 v8, s2, v21, v8
	v_add_co_ci_u32_e64 v9, null, v22, v9, s2
	flat_load_dwordx2 v[9:10], v[8:9]
.LBB56_11:                              ;   in Loop: Header=BB56_7 Depth=2
	s_andn2_saveexec_b32 s2, s20
	s_cbranch_execz .LBB56_13
; %bb.12:                               ;   in Loop: Header=BB56_7 Depth=2
	s_waitcnt vmcnt(0) lgkmcnt(0)
	flat_load_dword v9, v[3:4]
	v_mov_b32_e32 v10, 0
.LBB56_13:                              ;   in Loop: Header=BB56_7 Depth=2
	s_or_b32 exec_lo, exec_lo, s2
                                        ; implicit-def: $vgpr8
.LBB56_14:                              ;   in Loop: Header=BB56_7 Depth=2
	s_andn2_saveexec_b32 s3, s3
	s_cbranch_execz .LBB56_16
; %bb.15:                               ;   in Loop: Header=BB56_7 Depth=2
	s_waitcnt vmcnt(0) lgkmcnt(0)
	v_ashrrev_i32_e32 v9, 31, v8
	v_lshlrev_b64 v[8:9], 3, v[8:9]
	v_add_co_u32 v8, s2, v23, v8
	v_add_co_ci_u32_e64 v9, null, v24, v9, s2
	flat_load_dwordx2 v[9:10], v[8:9]
	s_waitcnt vmcnt(0) lgkmcnt(0)
	v_xor_b32_e32 v10, 0x80000000, v10
.LBB56_16:                              ;   in Loop: Header=BB56_7 Depth=2
	s_or_b32 exec_lo, exec_lo, s3
.LBB56_17:                              ;   in Loop: Header=BB56_7 Depth=2
	s_or_b32 exec_lo, exec_lo, s17
	v_add_nc_u32_e32 v11, s16, v0
	v_mov_b32_e32 v8, 0
	s_waitcnt vmcnt(0) lgkmcnt(0)
	ds_write_b64 v15, v[9:10]
	v_cmp_gt_i32_e64 s2, s21, v11
	s_and_b32 s2, s2, vcc_lo
	s_and_saveexec_b32 s3, s2
	s_cbranch_execz .LBB56_19
; %bb.18:                               ;   in Loop: Header=BB56_7 Depth=2
	v_ashrrev_i32_e32 v12, 31, v11
	v_lshlrev_b64 v[7:8], 3, v[11:12]
	v_add_co_u32 v7, s2, v26, v7
	v_add_co_ci_u32_e64 v8, null, v27, v8, s2
	flat_load_dwordx2 v[7:8], v[7:8]
.LBB56_19:                              ;   in Loop: Header=BB56_7 Depth=2
	s_or_b32 exec_lo, exec_lo, s3
	s_waitcnt vmcnt(0) lgkmcnt(0)
	ds_write_b64 v16, v[7:8]
	s_waitcnt lgkmcnt(0)
	s_barrier
	buffer_gl0_inv
	s_and_saveexec_b32 s2, s15
	s_cbranch_execz .LBB56_6
; %bb.20:                               ;   in Loop: Header=BB56_7 Depth=2
	flat_load_dwordx2 v[7:8], v[5:6]
	ds_read2_b64 v[9:12], v14 offset1:32
	ds_read_b128 v[28:31], v13
	ds_read_b128 v[32:35], v13 offset:16
	ds_read2_b64 v[36:39], v14 offset0:64 offset1:96
	ds_read2_b64 v[40:43], v14 offset0:128 offset1:160
	ds_read_b128 v[44:47], v13 offset:32
	ds_read_b128 v[48:51], v13 offset:48
	ds_read2_b64 v[52:55], v14 offset0:192 offset1:224
	ds_read2_b64 v[56:59], v17 offset1:32
	ds_read_b128 v[60:63], v13 offset:64
	ds_read_b128 v[64:67], v13 offset:80
	ds_read2_b64 v[68:71], v17 offset0:64 offset1:96
	ds_read2_b64 v[72:75], v17 offset0:128 offset1:160
	ds_read_b128 v[76:79], v13 offset:96
	ds_read_b128 v[80:83], v13 offset:112
	s_waitcnt lgkmcnt(13)
	v_mul_f32_e32 v84, v10, v29
	v_mul_f32_e32 v85, v9, v29
	;; [unrolled: 1-line block ×3, first 2 shown]
	s_waitcnt lgkmcnt(11)
	v_mul_f32_e32 v88, v36, v33
	v_mul_f32_e32 v29, v12, v31
	v_fma_f32 v84, v9, v28, -v84
	v_fmac_f32_e32 v85, v10, v28
	v_mul_f32_e32 v28, v37, v33
	s_waitcnt lgkmcnt(9)
	v_mul_f32_e32 v33, v41, v45
	v_fmac_f32_e32 v86, v12, v30
	v_mul_f32_e32 v90, v40, v45
	v_fma_f32 v87, v11, v30, -v29
	v_mul_f32_e32 v29, v39, v35
	v_fma_f32 v94, v40, v44, -v33
	v_add_f32_e32 v40, 0, v85
	v_fmac_f32_e32 v90, v41, v44
	s_waitcnt lgkmcnt(7)
	v_mul_f32_e32 v41, v53, v49
	v_mul_f32_e32 v85, v52, v49
	;; [unrolled: 1-line block ×3, first 2 shown]
	v_add_f32_e32 v44, v40, v86
	v_add_f32_e32 v40, 0, v84
	v_fma_f32 v91, v36, v32, -v28
	v_fmac_f32_e32 v88, v37, v32
	v_fma_f32 v84, v52, v48, -v41
	v_fmac_f32_e32 v85, v53, v48
	v_add_f32_e32 v48, v40, v87
	v_mul_f32_e32 v35, v43, v47
	v_fma_f32 v92, v38, v34, -v29
	v_fmac_f32_e32 v89, v39, v34
	v_add_f32_e32 v49, v44, v88
	v_add_f32_e32 v48, v48, v91
	v_mul_f32_e32 v93, v42, v47
	v_fma_f32 v95, v42, v46, -v35
	v_mul_f32_e32 v42, v55, v51
	v_mul_f32_e32 v86, v54, v51
	s_waitcnt lgkmcnt(5)
	v_mul_f32_e32 v87, v56, v61
	v_add_f32_e32 v49, v49, v89
	v_add_f32_e32 v48, v48, v92
	ds_read2_b64 v[9:12], v17 offset0:192 offset1:224
	v_fmac_f32_e32 v93, v43, v46
	v_fma_f32 v96, v54, v50, -v42
	v_fmac_f32_e32 v86, v55, v50
	v_mul_f32_e32 v50, v57, v61
	s_waitcnt lgkmcnt(4)
	v_mul_f32_e32 v61, v69, v65
	v_add_f32_e32 v49, v49, v90
	v_mul_f32_e32 v89, v68, v65
	v_fmac_f32_e32 v87, v57, v60
	v_add_f32_e32 v57, v48, v94
	v_fma_f32 v65, v56, v60, -v50
	v_mul_f32_e32 v56, v71, v67
	v_mul_f32_e32 v91, v70, v67
	v_add_f32_e32 v60, v49, v93
	v_fma_f32 v92, v68, v64, -v61
	v_fmac_f32_e32 v89, v69, v64
	v_add_f32_e32 v64, v57, v95
	ds_read2_b64 v[28:31], v18 offset1:32
	v_fma_f32 v93, v70, v66, -v56
	v_fmac_f32_e32 v91, v71, v66
	v_add_f32_e32 v66, v60, v85
	v_add_f32_e32 v64, v64, v84
	ds_read_b128 v[32:35], v13 offset:128
	ds_read_b128 v[36:39], v13 offset:144
	v_mul_f32_e32 v51, v59, v63
	v_mul_f32_e32 v88, v58, v63
	s_waitcnt lgkmcnt(5)
	v_mul_f32_e32 v67, v73, v77
	v_mul_f32_e32 v77, v72, v77
	v_add_f32_e32 v66, v66, v86
	v_add_f32_e32 v64, v64, v96
	ds_read2_b64 v[40:43], v18 offset0:64 offset1:96
	v_fma_f32 v90, v58, v62, -v51
	v_fmac_f32_e32 v88, v59, v62
	v_mul_f32_e32 v68, v75, v79
	v_mul_f32_e32 v79, v74, v79
	s_waitcnt lgkmcnt(4)
	v_mul_f32_e32 v84, v10, v81
	v_add_f32_e32 v66, v66, v87
	v_mul_f32_e32 v81, v9, v81
	v_fma_f32 v85, v72, v76, -v67
	v_fmac_f32_e32 v77, v73, v76
	v_mul_f32_e32 v72, v12, v83
	v_add_f32_e32 v73, v64, v65
	v_fma_f32 v76, v74, v78, -v68
	v_fmac_f32_e32 v79, v75, v78
	v_mul_f32_e32 v78, v11, v83
	v_add_f32_e32 v74, v66, v88
	v_fma_f32 v83, v9, v80, -v84
	v_fmac_f32_e32 v81, v10, v80
	v_fma_f32 v80, v11, v82, -v72
	v_add_f32_e32 v72, v73, v90
	v_fmac_f32_e32 v78, v12, v82
	s_waitcnt lgkmcnt(2)
	v_mul_f32_e32 v82, v29, v33
	v_add_f32_e32 v73, v74, v89
	v_mul_f32_e32 v84, v28, v33
	v_mul_f32_e32 v33, v31, v35
	;; [unrolled: 1-line block ×3, first 2 shown]
	v_add_f32_e32 v35, v72, v92
	v_add_f32_e32 v87, v73, v91
	s_waitcnt lgkmcnt(0)
	v_mul_f32_e32 v90, v40, v37
	ds_read2_b64 v[44:47], v18 offset0:128 offset1:160
	ds_read_b128 v[48:51], v13 offset:160
	ds_read_b128 v[52:55], v13 offset:176
	v_add_f32_e32 v89, v35, v93
	v_add_f32_e32 v77, v87, v77
	v_mul_f32_e32 v87, v41, v37
	v_fmac_f32_e32 v90, v41, v36
	v_fma_f32 v82, v28, v32, -v82
	v_add_f32_e32 v37, v89, v85
	v_mul_f32_e32 v85, v43, v39
	v_add_f32_e32 v77, v77, v79
	v_mul_f32_e32 v79, v42, v39
	v_fmac_f32_e32 v84, v29, v32
	ds_read2_b64 v[56:59], v18 offset0:192 offset1:224
	v_fma_f32 v41, v42, v38, -v85
	v_add_f32_e32 v42, v37, v76
	v_add_f32_e32 v76, v77, v81
	v_fma_f32 v88, v30, v34, -v33
	v_fmac_f32_e32 v86, v31, v34
	v_fma_f32 v40, v40, v36, -v87
	v_add_f32_e32 v42, v42, v83
	v_add_f32_e32 v76, v76, v78
	ds_read2_b64 v[60:63], v25 offset1:32
	v_fmac_f32_e32 v79, v43, v38
	s_waitcnt lgkmcnt(3)
	v_mul_f32_e32 v43, v45, v49
	v_add_f32_e32 v42, v42, v80
	v_add_f32_e32 v76, v76, v84
	v_mul_f32_e32 v49, v44, v49
	ds_read_b128 v[64:67], v13 offset:192
	ds_read_b128 v[68:71], v13 offset:208
	v_mul_f32_e32 v77, v47, v51
	v_add_f32_e32 v42, v42, v82
	v_add_f32_e32 v76, v76, v86
	v_mul_f32_e32 v51, v46, v51
	v_fma_f32 v43, v44, v48, -v43
	v_fmac_f32_e32 v49, v45, v48
	v_add_f32_e32 v42, v42, v88
	v_add_f32_e32 v76, v76, v90
	ds_read2_b64 v[9:12], v25 offset0:64 offset1:96
	s_waitcnt lgkmcnt(4)
	v_mul_f32_e32 v78, v57, v53
	v_mul_f32_e32 v53, v56, v53
	v_add_f32_e32 v40, v42, v40
	v_add_f32_e32 v44, v76, v79
	v_fma_f32 v45, v46, v50, -v77
	v_fmac_f32_e32 v51, v47, v50
	v_mul_f32_e32 v80, v59, v55
	v_add_f32_e32 v40, v40, v41
	v_add_f32_e32 v44, v44, v49
	v_mul_f32_e32 v55, v58, v55
	v_fma_f32 v46, v56, v52, -v78
	v_fmac_f32_e32 v53, v57, v52
	v_add_f32_e32 v40, v40, v43
	v_add_f32_e32 v44, v44, v51
	ds_read2_b64 v[72:75], v25 offset0:128 offset1:160
	s_waitcnt lgkmcnt(3)
	v_mul_f32_e32 v81, v61, v65
	v_mul_f32_e32 v65, v60, v65
	v_add_f32_e32 v40, v40, v45
	v_fma_f32 v47, v58, v54, -v80
	v_fmac_f32_e32 v55, v59, v54
	v_add_f32_e32 v44, v44, v53
	ds_read_b128 v[28:31], v13 offset:224
	ds_read_b128 v[32:35], v13 offset:240
	v_add_f32_e32 v40, v40, v46
	ds_read2_b64 v[36:39], v25 offset0:192 offset1:224
	v_mul_f32_e32 v82, v63, v67
	v_mul_f32_e32 v67, v62, v67
	v_fmac_f32_e32 v65, v61, v64
	v_fma_f32 v46, v60, v64, -v81
	v_add_f32_e32 v44, v44, v55
	v_add_f32_e32 v40, v40, v47
	s_waitcnt lgkmcnt(4)
	v_mul_f32_e32 v83, v10, v69
	v_mul_f32_e32 v42, v9, v69
	v_fma_f32 v48, v62, v66, -v82
	v_fmac_f32_e32 v67, v63, v66
	v_add_f32_e32 v44, v44, v65
	v_add_f32_e32 v40, v40, v46
	v_mul_f32_e32 v41, v12, v71
	v_mul_f32_e32 v43, v11, v71
	v_fma_f32 v9, v9, v68, -v83
	v_fmac_f32_e32 v42, v10, v68
	v_add_f32_e32 v10, v44, v67
	v_add_f32_e32 v40, v40, v48
	s_waitcnt lgkmcnt(2)
	v_mul_f32_e32 v45, v73, v29
	v_mul_f32_e32 v29, v72, v29
	v_fma_f32 v11, v11, v70, -v41
	v_fmac_f32_e32 v43, v12, v70
	v_add_f32_e32 v10, v10, v42
	v_add_f32_e32 v9, v40, v9
	v_mul_f32_e32 v47, v75, v31
	v_mul_f32_e32 v31, v74, v31
	s_waitcnt lgkmcnt(0)
	v_mul_f32_e32 v44, v37, v33
	v_mul_f32_e32 v12, v36, v33
	v_fma_f32 v33, v72, v28, -v45
	v_fmac_f32_e32 v29, v73, v28
	v_add_f32_e32 v10, v10, v43
	v_add_f32_e32 v9, v9, v11
	v_fma_f32 v28, v74, v30, -v47
	v_fmac_f32_e32 v31, v75, v30
	v_mul_f32_e32 v11, v39, v35
	v_add_f32_e32 v10, v10, v29
	v_add_f32_e32 v9, v9, v33
	v_mul_f32_e32 v29, v38, v35
	v_fma_f32 v30, v36, v32, -v44
	v_fmac_f32_e32 v12, v37, v32
	v_add_f32_e32 v10, v10, v31
	v_add_f32_e32 v9, v9, v28
	v_fma_f32 v11, v38, v34, -v11
	v_fmac_f32_e32 v29, v39, v34
	v_add_f32_e32 v10, v10, v12
	v_add_f32_e32 v9, v9, v30
	;; [unrolled: 1-line block ×4, first 2 shown]
	v_mul_f32_e32 v11, s11, v10
	v_mul_f32_e32 v12, s11, v9
	v_fma_f32 v9, s10, v9, -v11
	v_fmac_f32_e32 v12, s10, v10
	s_waitcnt vmcnt(0)
	v_add_f32_e32 v7, v7, v9
	v_add_f32_e32 v8, v8, v12
	flat_store_dwordx2 v[5:6], v[7:8]
	s_branch .LBB56_6
.LBB56_21:
	s_endpgm
	.section	.rodata,"a",@progbits
	.p2align	6, 0x0
	.amdhsa_kernel _ZL24rocblas_symm_hemm_kernelILb1ELb0ELi32EPK19rocblas_complex_numIfEPKS3_PKPS1_EvbiiT2_T3_lllSA_lllT4_llli
		.amdhsa_group_segment_fixed_size 16384
		.amdhsa_private_segment_fixed_size 0
		.amdhsa_kernarg_size 384
		.amdhsa_user_sgpr_count 6
		.amdhsa_user_sgpr_private_segment_buffer 1
		.amdhsa_user_sgpr_dispatch_ptr 0
		.amdhsa_user_sgpr_queue_ptr 0
		.amdhsa_user_sgpr_kernarg_segment_ptr 1
		.amdhsa_user_sgpr_dispatch_id 0
		.amdhsa_user_sgpr_flat_scratch_init 0
		.amdhsa_user_sgpr_private_segment_size 0
		.amdhsa_wavefront_size32 1
		.amdhsa_uses_dynamic_stack 0
		.amdhsa_system_sgpr_private_segment_wavefront_offset 0
		.amdhsa_system_sgpr_workgroup_id_x 1
		.amdhsa_system_sgpr_workgroup_id_y 1
		.amdhsa_system_sgpr_workgroup_id_z 1
		.amdhsa_system_sgpr_workgroup_info 0
		.amdhsa_system_vgpr_workitem_id 1
		.amdhsa_next_free_vgpr 97
		.amdhsa_next_free_sgpr 32
		.amdhsa_reserve_vcc 1
		.amdhsa_reserve_flat_scratch 0
		.amdhsa_float_round_mode_32 0
		.amdhsa_float_round_mode_16_64 0
		.amdhsa_float_denorm_mode_32 3
		.amdhsa_float_denorm_mode_16_64 3
		.amdhsa_dx10_clamp 1
		.amdhsa_ieee_mode 1
		.amdhsa_fp16_overflow 0
		.amdhsa_workgroup_processor_mode 1
		.amdhsa_memory_ordered 1
		.amdhsa_forward_progress 1
		.amdhsa_shared_vgpr_count 0
		.amdhsa_exception_fp_ieee_invalid_op 0
		.amdhsa_exception_fp_denorm_src 0
		.amdhsa_exception_fp_ieee_div_zero 0
		.amdhsa_exception_fp_ieee_overflow 0
		.amdhsa_exception_fp_ieee_underflow 0
		.amdhsa_exception_fp_ieee_inexact 0
		.amdhsa_exception_int_div_zero 0
	.end_amdhsa_kernel
	.section	.text._ZL24rocblas_symm_hemm_kernelILb1ELb0ELi32EPK19rocblas_complex_numIfEPKS3_PKPS1_EvbiiT2_T3_lllSA_lllT4_llli,"axG",@progbits,_ZL24rocblas_symm_hemm_kernelILb1ELb0ELi32EPK19rocblas_complex_numIfEPKS3_PKPS1_EvbiiT2_T3_lllSA_lllT4_llli,comdat
.Lfunc_end56:
	.size	_ZL24rocblas_symm_hemm_kernelILb1ELb0ELi32EPK19rocblas_complex_numIfEPKS3_PKPS1_EvbiiT2_T3_lllSA_lllT4_llli, .Lfunc_end56-_ZL24rocblas_symm_hemm_kernelILb1ELb0ELi32EPK19rocblas_complex_numIfEPKS3_PKPS1_EvbiiT2_T3_lllSA_lllT4_llli
                                        ; -- End function
	.set _ZL24rocblas_symm_hemm_kernelILb1ELb0ELi32EPK19rocblas_complex_numIfEPKS3_PKPS1_EvbiiT2_T3_lllSA_lllT4_llli.num_vgpr, 97
	.set _ZL24rocblas_symm_hemm_kernelILb1ELb0ELi32EPK19rocblas_complex_numIfEPKS3_PKPS1_EvbiiT2_T3_lllSA_lllT4_llli.num_agpr, 0
	.set _ZL24rocblas_symm_hemm_kernelILb1ELb0ELi32EPK19rocblas_complex_numIfEPKS3_PKPS1_EvbiiT2_T3_lllSA_lllT4_llli.numbered_sgpr, 32
	.set _ZL24rocblas_symm_hemm_kernelILb1ELb0ELi32EPK19rocblas_complex_numIfEPKS3_PKPS1_EvbiiT2_T3_lllSA_lllT4_llli.num_named_barrier, 0
	.set _ZL24rocblas_symm_hemm_kernelILb1ELb0ELi32EPK19rocblas_complex_numIfEPKS3_PKPS1_EvbiiT2_T3_lllSA_lllT4_llli.private_seg_size, 0
	.set _ZL24rocblas_symm_hemm_kernelILb1ELb0ELi32EPK19rocblas_complex_numIfEPKS3_PKPS1_EvbiiT2_T3_lllSA_lllT4_llli.uses_vcc, 1
	.set _ZL24rocblas_symm_hemm_kernelILb1ELb0ELi32EPK19rocblas_complex_numIfEPKS3_PKPS1_EvbiiT2_T3_lllSA_lllT4_llli.uses_flat_scratch, 0
	.set _ZL24rocblas_symm_hemm_kernelILb1ELb0ELi32EPK19rocblas_complex_numIfEPKS3_PKPS1_EvbiiT2_T3_lllSA_lllT4_llli.has_dyn_sized_stack, 0
	.set _ZL24rocblas_symm_hemm_kernelILb1ELb0ELi32EPK19rocblas_complex_numIfEPKS3_PKPS1_EvbiiT2_T3_lllSA_lllT4_llli.has_recursion, 0
	.set _ZL24rocblas_symm_hemm_kernelILb1ELb0ELi32EPK19rocblas_complex_numIfEPKS3_PKPS1_EvbiiT2_T3_lllSA_lllT4_llli.has_indirect_call, 0
	.section	.AMDGPU.csdata,"",@progbits
; Kernel info:
; codeLenInByte = 2304
; TotalNumSgprs: 34
; NumVgprs: 97
; ScratchSize: 0
; MemoryBound: 0
; FloatMode: 240
; IeeeMode: 1
; LDSByteSize: 16384 bytes/workgroup (compile time only)
; SGPRBlocks: 0
; VGPRBlocks: 12
; NumSGPRsForWavesPerEU: 34
; NumVGPRsForWavesPerEU: 97
; Occupancy: 9
; WaveLimiterHint : 1
; COMPUTE_PGM_RSRC2:SCRATCH_EN: 0
; COMPUTE_PGM_RSRC2:USER_SGPR: 6
; COMPUTE_PGM_RSRC2:TRAP_HANDLER: 0
; COMPUTE_PGM_RSRC2:TGID_X_EN: 1
; COMPUTE_PGM_RSRC2:TGID_Y_EN: 1
; COMPUTE_PGM_RSRC2:TGID_Z_EN: 1
; COMPUTE_PGM_RSRC2:TIDIG_COMP_CNT: 1
	.section	.text._ZL24rocblas_symm_hemm_kernelILb1ELb1ELi32EPK19rocblas_complex_numIfEPKS3_PKPS1_EvbiiT2_T3_lllSA_lllT4_llli,"axG",@progbits,_ZL24rocblas_symm_hemm_kernelILb1ELb1ELi32EPK19rocblas_complex_numIfEPKS3_PKPS1_EvbiiT2_T3_lllSA_lllT4_llli,comdat
	.globl	_ZL24rocblas_symm_hemm_kernelILb1ELb1ELi32EPK19rocblas_complex_numIfEPKS3_PKPS1_EvbiiT2_T3_lllSA_lllT4_llli ; -- Begin function _ZL24rocblas_symm_hemm_kernelILb1ELb1ELi32EPK19rocblas_complex_numIfEPKS3_PKPS1_EvbiiT2_T3_lllSA_lllT4_llli
	.p2align	8
	.type	_ZL24rocblas_symm_hemm_kernelILb1ELb1ELi32EPK19rocblas_complex_numIfEPKS3_PKPS1_EvbiiT2_T3_lllSA_lllT4_llli,@function
_ZL24rocblas_symm_hemm_kernelILb1ELb1ELi32EPK19rocblas_complex_numIfEPKS3_PKPS1_EvbiiT2_T3_lllSA_lllT4_llli: ; @_ZL24rocblas_symm_hemm_kernelILb1ELb1ELi32EPK19rocblas_complex_numIfEPKS3_PKPS1_EvbiiT2_T3_lllSA_lllT4_llli
; %bb.0:
	s_load_dwordx8 s[12:19], s[4:5], 0x10
	s_waitcnt lgkmcnt(0)
	s_load_dwordx2 s[12:13], s[12:13], 0x0
	s_waitcnt lgkmcnt(0)
	v_cmp_eq_f32_e64 s0, s12, 0
	v_cmp_eq_f32_e64 s1, s13, 0
	s_and_b32 s0, s0, s1
	s_and_b32 vcc_lo, exec_lo, s0
	s_cbranch_vccnz .LBB57_21
; %bb.1:
	s_load_dwordx4 s[20:23], s[4:5], 0x0
	s_waitcnt lgkmcnt(0)
	s_add_i32 s0, s22, -1
	s_ashr_i32 s1, s0, 31
	s_lshr_b32 s1, s1, 27
	s_add_i32 s0, s0, s1
	s_ashr_i32 s23, s0, 5
	s_cmp_gt_i32 s7, s23
	s_cbranch_scc1 .LBB57_21
; %bb.2:
	s_mov_b32 s9, 0
	v_lshl_add_u32 v2, s6, 5, v0
	s_lshl_b64 s[26:27], s[8:9], 3
	v_lshlrev_b32_e32 v4, 3, v1
	s_add_u32 s0, s14, s26
	s_addc_u32 s1, s15, s27
	s_lshl_b64 s[28:29], s[16:17], 3
	s_load_dwordx2 s[24:25], s[0:1], 0x0
	s_clause 0x4
	s_load_dwordx4 s[0:3], s[4:5], 0x38
	s_load_dwordx4 s[8:11], s[4:5], 0x58
	s_load_dwordx2 s[14:15], s[4:5], 0x48
	s_load_dwordx2 s[16:17], s[4:5], 0x68
	s_load_dword s4, s[4:5], 0x84
	v_ashrrev_i32_e32 v3, 31, v2
	v_lshlrev_b32_e32 v12, 8, v0
	v_lshl_add_u32 v5, s7, 5, v1
	v_or_b32_e32 v13, 0x2000, v4
	v_add_nc_u32_e32 v14, v12, v4
	v_sub_nc_u32_e32 v15, 0, v5
	v_add_nc_u32_e32 v16, v13, v12
	v_add_nc_u32_e32 v17, 0x800, v13
	;; [unrolled: 1-line block ×4, first 2 shown]
	s_waitcnt lgkmcnt(0)
	s_add_u32 s24, s24, s28
	s_addc_u32 s25, s25, s29
	s_add_u32 s0, s0, s26
	s_addc_u32 s1, s1, s27
	s_add_u32 s8, s8, s26
	s_addc_u32 s9, s9, s27
	s_load_dwordx2 s[26:27], s[0:1], 0x0
	s_load_dwordx2 s[8:9], s[8:9], 0x0
	s_bitcmp1_b32 s20, 0
	v_cmp_gt_i32_e64 s0, s21, v2
	v_lshlrev_b64 v[2:3], 3, v[2:3]
	s_cselect_b32 s1, -1, 0
	s_lshl_b64 s[10:11], s[10:11], 3
	s_waitcnt lgkmcnt(0)
	s_add_u32 s5, s8, s10
	s_addc_u32 s6, s9, s11
	s_lshl_b64 s[2:3], s[2:3], 3
	v_add_co_u32 v19, vcc_lo, s5, v2
	s_add_u32 s2, s26, s2
	v_add_co_ci_u32_e64 v20, null, s6, v3, vcc_lo
	s_addc_u32 s3, s27, s3
	v_add_co_u32 v21, vcc_lo, s2, v2
	v_add_co_ci_u32_e64 v22, null, s3, v3, vcc_lo
	s_cmp_gt_i32 s22, 0
	s_cselect_b32 s3, -1, 0
	s_lshl_b32 s5, s4, 5
	s_branch .LBB57_4
.LBB57_3:                               ;   in Loop: Header=BB57_4 Depth=1
	v_subrev_nc_u32_e32 v15, s5, v15
	s_add_i32 s7, s7, s4
	s_cmp_gt_i32 s7, s23
	s_cbranch_scc1 .LBB57_21
.LBB57_4:                               ; =>This Loop Header: Depth=1
                                        ;     Child Loop BB57_7 Depth 2
	s_andn2_b32 vcc_lo, exec_lo, s3
	s_cbranch_vccnz .LBB57_3
; %bb.5:                                ;   in Loop: Header=BB57_4 Depth=1
	v_lshl_add_u32 v2, s7, 5, v1
	v_add_nc_u32_e32 v28, v0, v15
	s_mov_b32 s8, 0
	v_ashrrev_i32_e32 v3, 31, v2
	v_mul_lo_u32 v8, s19, v2
	v_mad_u64_u32 v[4:5], null, s18, v2, 0
	v_mul_lo_u32 v10, s17, v2
	v_mul_lo_u32 v9, s18, v3
	v_mad_u64_u32 v[6:7], null, s16, v2, 0
	v_mul_lo_u32 v11, s16, v3
	v_cmp_gt_i32_e32 vcc_lo, s22, v2
	v_add3_u32 v5, v5, v9, v8
	v_lshlrev_b64 v[8:9], 3, v[2:3]
	s_and_b32 s6, s0, vcc_lo
	v_add3_u32 v7, v7, v11, v10
	v_lshlrev_b64 v[3:4], 3, v[4:5]
	v_add_co_u32 v24, s2, s24, v8
	v_lshlrev_b64 v[5:6], 3, v[6:7]
	v_add_co_ci_u32_e64 v25, null, s25, v9, s2
	v_add_co_u32 v26, s2, s24, v3
	v_add_co_ci_u32_e64 v27, null, s25, v4, s2
	v_add_co_u32 v3, s2, v19, v5
	;; [unrolled: 2-line block ×3, first 2 shown]
	v_add_co_ci_u32_e64 v6, null, v27, v9, s2
	s_branch .LBB57_7
.LBB57_6:                               ;   in Loop: Header=BB57_7 Depth=2
	s_or_b32 exec_lo, exec_lo, s2
	s_add_i32 s8, s8, 32
	s_waitcnt lgkmcnt(0)
	s_waitcnt_vscnt null, 0x0
	s_cmp_ge_i32 s8, s22
	s_barrier
	buffer_gl0_inv
	s_cbranch_scc1 .LBB57_3
.LBB57_7:                               ;   Parent Loop BB57_4 Depth=1
                                        ; =>  This Inner Loop Header: Depth=2
	v_add_nc_u32_e32 v8, s8, v1
	v_mov_b32_e32 v7, 0
	v_mov_b32_e32 v10, 0
	;; [unrolled: 1-line block ×3, first 2 shown]
	v_cmp_gt_i32_e32 vcc_lo, s22, v8
	s_and_b32 s9, s0, vcc_lo
	s_and_saveexec_b32 s2, s9
	s_cbranch_execz .LBB57_9
; %bb.8:                                ;   in Loop: Header=BB57_7 Depth=2
	v_ashrrev_i32_e32 v10, 31, v8
	v_mul_lo_u32 v11, s15, v8
	v_mad_u64_u32 v[8:9], null, s14, v8, 0
	v_mul_lo_u32 v10, s14, v10
	v_add3_u32 v9, v9, v10, v11
	v_lshlrev_b64 v[8:9], 3, v[8:9]
	v_add_co_u32 v8, vcc_lo, v21, v8
	v_add_co_ci_u32_e64 v9, null, v22, v9, vcc_lo
	flat_load_dwordx2 v[10:11], v[8:9]
.LBB57_9:                               ;   in Loop: Header=BB57_7 Depth=2
	s_or_b32 exec_lo, exec_lo, s2
	v_add_nc_u32_e32 v9, s8, v0
	s_mov_b32 s9, exec_lo
	s_waitcnt vmcnt(0) lgkmcnt(0)
	ds_write_b64 v14, v[10:11]
	v_cndmask_b32_e64 v8, v2, v9, s1
	v_cndmask_b32_e64 v29, v9, v2, s1
	v_cmp_gt_i32_e32 vcc_lo, v8, v29
	v_cndmask_b32_e32 v30, v9, v2, vcc_lo
	v_cndmask_b32_e32 v31, v2, v9, vcc_lo
	v_cmp_le_i32_e32 vcc_lo, v8, v29
	v_mov_b32_e32 v8, 0
	v_max_i32_e32 v30, v30, v31
	v_cmpx_gt_i32_e64 s22, v30
	s_cbranch_execz .LBB57_19
; %bb.10:                               ;   in Loop: Header=BB57_7 Depth=2
                                        ; implicit-def: $vgpr8
	s_and_saveexec_b32 s2, vcc_lo
	s_xor_b32 s2, exec_lo, s2
	s_cbranch_execz .LBB57_16
; %bb.11:                               ;   in Loop: Header=BB57_7 Depth=2
	v_add_nc_u32_e32 v7, s8, v28
	v_cmp_ne_u32_e32 vcc_lo, 0, v7
                                        ; implicit-def: $vgpr8
	s_and_saveexec_b32 s10, vcc_lo
	s_xor_b32 s10, exec_lo, s10
	s_cbranch_execz .LBB57_13
; %bb.12:                               ;   in Loop: Header=BB57_7 Depth=2
	v_ashrrev_i32_e32 v10, 31, v9
	v_lshlrev_b64 v[7:8], 3, v[9:10]
	v_add_co_u32 v7, vcc_lo, v26, v7
	v_add_co_ci_u32_e64 v8, null, v27, v8, vcc_lo
	flat_load_dwordx2 v[7:8], v[7:8]
.LBB57_13:                              ;   in Loop: Header=BB57_7 Depth=2
	s_andn2_saveexec_b32 s10, s10
	s_cbranch_execz .LBB57_15
; %bb.14:                               ;   in Loop: Header=BB57_7 Depth=2
	s_waitcnt vmcnt(0) lgkmcnt(0)
	flat_load_dword v7, v[5:6]
	v_mov_b32_e32 v8, 0
.LBB57_15:                              ;   in Loop: Header=BB57_7 Depth=2
	s_or_b32 exec_lo, exec_lo, s10
                                        ; implicit-def: $vgpr9
.LBB57_16:                              ;   in Loop: Header=BB57_7 Depth=2
	s_andn2_saveexec_b32 s2, s2
	s_cbranch_execz .LBB57_18
; %bb.17:                               ;   in Loop: Header=BB57_7 Depth=2
	v_ashrrev_i32_e32 v10, 31, v9
	v_mul_lo_u32 v11, s19, v9
	s_waitcnt vmcnt(0) lgkmcnt(0)
	v_mad_u64_u32 v[7:8], null, s18, v9, 0
	v_mul_lo_u32 v9, s18, v10
	v_add3_u32 v8, v8, v9, v11
	v_lshlrev_b64 v[7:8], 3, v[7:8]
	v_add_co_u32 v7, vcc_lo, v24, v7
	v_add_co_ci_u32_e64 v8, null, v25, v8, vcc_lo
	flat_load_dwordx2 v[7:8], v[7:8]
	s_waitcnt vmcnt(0) lgkmcnt(0)
	v_xor_b32_e32 v8, 0x80000000, v8
.LBB57_18:                              ;   in Loop: Header=BB57_7 Depth=2
	s_or_b32 exec_lo, exec_lo, s2
.LBB57_19:                              ;   in Loop: Header=BB57_7 Depth=2
	s_or_b32 exec_lo, exec_lo, s9
	s_waitcnt vmcnt(0) lgkmcnt(0)
	ds_write_b64 v16, v[7:8]
	s_waitcnt lgkmcnt(0)
	s_barrier
	buffer_gl0_inv
	s_and_saveexec_b32 s2, s6
	s_cbranch_execz .LBB57_6
; %bb.20:                               ;   in Loop: Header=BB57_7 Depth=2
	flat_load_dwordx2 v[7:8], v[3:4]
	ds_read2_b64 v[29:32], v13 offset1:32
	ds_read_b128 v[33:36], v12
	ds_read_b128 v[37:40], v12 offset:16
	ds_read2_b64 v[41:44], v13 offset0:64 offset1:96
	ds_read2_b64 v[45:48], v13 offset0:128 offset1:160
	ds_read_b128 v[49:52], v12 offset:32
	ds_read_b128 v[53:56], v12 offset:48
	ds_read2_b64 v[57:60], v13 offset0:192 offset1:224
	ds_read2_b64 v[61:64], v17 offset1:32
	ds_read_b128 v[65:68], v12 offset:64
	ds_read_b128 v[69:72], v12 offset:80
	ds_read2_b64 v[73:76], v17 offset0:64 offset1:96
	ds_read2_b64 v[77:80], v17 offset0:128 offset1:160
	ds_read_b128 v[81:84], v12 offset:96
	ds_read_b128 v[85:88], v12 offset:112
	s_waitcnt lgkmcnt(13)
	v_mul_f32_e32 v9, v30, v34
	v_mul_f32_e32 v10, v29, v34
	;; [unrolled: 1-line block ×4, first 2 shown]
	s_waitcnt lgkmcnt(11)
	v_mul_f32_e32 v90, v41, v38
	v_fma_f32 v9, v29, v33, -v9
	v_fmac_f32_e32 v10, v30, v33
	v_fma_f32 v11, v31, v35, -v11
	v_fmac_f32_e32 v89, v32, v35
	v_mul_f32_e32 v33, v42, v38
	v_add_f32_e32 v9, 0, v9
	v_add_f32_e32 v10, 0, v10
	v_mul_f32_e32 v34, v44, v40
	v_mul_f32_e32 v91, v43, v40
	v_fma_f32 v93, v41, v37, -v33
	v_fmac_f32_e32 v90, v42, v37
	v_add_f32_e32 v10, v10, v89
	v_add_f32_e32 v9, v9, v11
	s_waitcnt lgkmcnt(9)
	v_mul_f32_e32 v38, v46, v50
	v_mul_f32_e32 v92, v45, v50
	v_fma_f32 v94, v43, v39, -v34
	v_fmac_f32_e32 v91, v44, v39
	v_add_f32_e32 v10, v10, v90
	v_add_f32_e32 v9, v9, v93
	v_mul_f32_e32 v40, v48, v52
	v_mul_f32_e32 v95, v47, v52
	v_fma_f32 v96, v45, v49, -v38
	v_fmac_f32_e32 v92, v46, v49
	v_add_f32_e32 v10, v10, v91
	v_add_f32_e32 v9, v9, v94
	v_fma_f32 v97, v47, v51, -v40
	v_fmac_f32_e32 v95, v48, v51
	s_waitcnt lgkmcnt(7)
	v_mul_f32_e32 v45, v58, v54
	v_mul_f32_e32 v98, v57, v54
	v_add_f32_e32 v10, v10, v92
	v_add_f32_e32 v9, v9, v96
	v_mul_f32_e32 v46, v60, v56
	v_mul_f32_e32 v89, v59, v56
	v_fma_f32 v99, v57, v53, -v45
	v_fmac_f32_e32 v98, v58, v53
	v_add_f32_e32 v10, v10, v95
	v_add_f32_e32 v9, v9, v97
	v_fma_f32 v100, v59, v55, -v46
	v_fmac_f32_e32 v89, v60, v55
	s_waitcnt lgkmcnt(5)
	v_mul_f32_e32 v11, v62, v66
	v_mul_f32_e32 v90, v61, v66
	v_add_f32_e32 v10, v10, v98
	v_add_f32_e32 v9, v9, v99
	v_mul_f32_e32 v53, v64, v68
	v_mul_f32_e32 v91, v63, v68
	v_fma_f32 v11, v61, v65, -v11
	v_fmac_f32_e32 v90, v62, v65
	v_add_f32_e32 v10, v10, v89
	v_add_f32_e32 v9, v9, v100
	ds_read2_b64 v[29:32], v17 offset0:192 offset1:224
	s_waitcnt lgkmcnt(4)
	v_mul_f32_e32 v66, v74, v70
	v_mul_f32_e32 v92, v73, v70
	v_fma_f32 v93, v63, v67, -v53
	v_fmac_f32_e32 v91, v64, v67
	v_add_f32_e32 v10, v10, v90
	v_add_f32_e32 v9, v9, v11
	v_mul_f32_e32 v61, v76, v72
	v_mul_f32_e32 v94, v75, v72
	v_fma_f32 v95, v73, v69, -v66
	v_fmac_f32_e32 v92, v74, v69
	v_add_f32_e32 v10, v10, v91
	v_add_f32_e32 v9, v9, v93
	ds_read2_b64 v[33:36], v18 offset1:32
	v_fma_f32 v96, v75, v71, -v61
	v_fmac_f32_e32 v94, v76, v71
	s_waitcnt lgkmcnt(3)
	v_mul_f32_e32 v69, v78, v82
	v_mul_f32_e32 v82, v77, v82
	v_add_f32_e32 v10, v10, v92
	v_add_f32_e32 v9, v9, v95
	ds_read_b128 v[37:40], v12 offset:128
	ds_read_b128 v[41:44], v12 offset:144
	v_mul_f32_e32 v70, v80, v84
	v_mul_f32_e32 v84, v79, v84
	v_fma_f32 v90, v77, v81, -v69
	v_fmac_f32_e32 v82, v78, v81
	v_add_f32_e32 v10, v10, v94
	v_add_f32_e32 v9, v9, v96
	ds_read2_b64 v[45:48], v18 offset0:64 offset1:96
	s_waitcnt lgkmcnt(4)
	v_mul_f32_e32 v89, v30, v86
	v_mul_f32_e32 v86, v29, v86
	v_fma_f32 v81, v79, v83, -v70
	v_fmac_f32_e32 v84, v80, v83
	v_add_f32_e32 v10, v10, v82
	v_add_f32_e32 v9, v9, v90
	v_mul_f32_e32 v77, v32, v88
	v_mul_f32_e32 v83, v31, v88
	v_fma_f32 v11, v29, v85, -v89
	v_fmac_f32_e32 v86, v30, v85
	v_add_f32_e32 v10, v10, v84
	v_add_f32_e32 v9, v9, v81
	ds_read2_b64 v[49:52], v18 offset0:128 offset1:160
	v_fma_f32 v85, v31, v87, -v77
	v_fmac_f32_e32 v83, v32, v87
	s_waitcnt lgkmcnt(3)
	v_mul_f32_e32 v87, v34, v38
	v_mul_f32_e32 v88, v33, v38
	v_add_f32_e32 v10, v10, v86
	v_add_f32_e32 v9, v9, v11
	ds_read_b128 v[53:56], v12 offset:160
	ds_read_b128 v[57:60], v12 offset:176
	v_mul_f32_e32 v38, v36, v40
	v_mul_f32_e32 v89, v35, v40
	v_fma_f32 v87, v33, v37, -v87
	v_fmac_f32_e32 v88, v34, v37
	v_add_f32_e32 v10, v10, v83
	v_add_f32_e32 v9, v9, v85
	ds_read2_b64 v[61:64], v18 offset0:192 offset1:224
	v_fma_f32 v91, v35, v39, -v38
	v_fmac_f32_e32 v89, v36, v39
	s_waitcnt lgkmcnt(4)
	v_mul_f32_e32 v82, v46, v42
	v_mul_f32_e32 v92, v45, v42
	v_add_f32_e32 v10, v10, v88
	v_add_f32_e32 v9, v9, v87
	v_mul_f32_e32 v42, v48, v44
	v_mul_f32_e32 v84, v47, v44
	v_fma_f32 v45, v45, v41, -v82
	v_fmac_f32_e32 v92, v46, v41
	v_add_f32_e32 v10, v10, v89
	v_add_f32_e32 v9, v9, v91
	ds_read2_b64 v[65:68], v23 offset1:32
	v_fma_f32 v46, v47, v43, -v42
	v_fmac_f32_e32 v84, v48, v43
	s_waitcnt lgkmcnt(3)
	v_mul_f32_e32 v47, v50, v54
	v_mul_f32_e32 v11, v49, v54
	v_add_f32_e32 v10, v10, v92
	v_add_f32_e32 v9, v9, v45
	ds_read_b128 v[69:72], v12 offset:192
	ds_read_b128 v[73:76], v12 offset:208
	v_mul_f32_e32 v48, v52, v56
	v_mul_f32_e32 v54, v51, v56
	v_fma_f32 v47, v49, v53, -v47
	v_fmac_f32_e32 v11, v50, v53
	v_add_f32_e32 v10, v10, v84
	v_add_f32_e32 v9, v9, v46
	ds_read2_b64 v[29:32], v23 offset0:64 offset1:96
	s_waitcnt lgkmcnt(4)
	v_mul_f32_e32 v56, v62, v58
	v_mul_f32_e32 v58, v61, v58
	v_fma_f32 v48, v51, v55, -v48
	v_fmac_f32_e32 v54, v52, v55
	v_add_f32_e32 v10, v10, v11
	v_add_f32_e32 v9, v9, v47
	v_mul_f32_e32 v81, v64, v60
	v_mul_f32_e32 v60, v63, v60
	v_fma_f32 v47, v61, v57, -v56
	v_fmac_f32_e32 v58, v62, v57
	v_add_f32_e32 v10, v10, v54
	v_add_f32_e32 v9, v9, v48
	ds_read2_b64 v[77:80], v23 offset0:128 offset1:160
	s_waitcnt lgkmcnt(3)
	v_mul_f32_e32 v82, v66, v70
	v_mul_f32_e32 v70, v65, v70
	v_fma_f32 v49, v63, v59, -v81
	v_fmac_f32_e32 v60, v64, v59
	v_add_f32_e32 v10, v10, v58
	v_add_f32_e32 v9, v9, v47
	ds_read_b128 v[33:36], v12 offset:224
	ds_read_b128 v[37:40], v12 offset:240
	v_mul_f32_e32 v83, v68, v72
	v_mul_f32_e32 v72, v67, v72
	v_fmac_f32_e32 v70, v66, v69
	v_fma_f32 v47, v65, v69, -v82
	v_add_f32_e32 v10, v10, v60
	v_add_f32_e32 v9, v9, v49
	ds_read2_b64 v[41:44], v23 offset0:192 offset1:224
	s_waitcnt lgkmcnt(4)
	v_mul_f32_e32 v85, v30, v74
	v_mul_f32_e32 v45, v29, v74
	v_fma_f32 v50, v67, v71, -v83
	v_fmac_f32_e32 v72, v68, v71
	v_add_f32_e32 v10, v10, v70
	v_add_f32_e32 v9, v9, v47
	v_mul_f32_e32 v46, v32, v76
	v_mul_f32_e32 v11, v31, v76
	v_fma_f32 v29, v29, v73, -v85
	v_fmac_f32_e32 v45, v30, v73
	v_add_f32_e32 v10, v10, v72
	v_add_f32_e32 v9, v9, v50
	s_waitcnt lgkmcnt(2)
	v_mul_f32_e32 v48, v78, v34
	v_mul_f32_e32 v34, v77, v34
	v_fma_f32 v31, v31, v75, -v46
	v_fmac_f32_e32 v11, v32, v75
	v_add_f32_e32 v10, v10, v45
	v_add_f32_e32 v9, v9, v29
	v_mul_f32_e32 v49, v80, v36
	v_mul_f32_e32 v36, v79, v36
	v_fma_f32 v32, v77, v33, -v48
	v_fmac_f32_e32 v34, v78, v33
	v_add_f32_e32 v10, v10, v11
	v_add_f32_e32 v9, v9, v31
	;; [unrolled: 13-line block ×3, first 2 shown]
	v_fma_f32 v11, v43, v39, -v11
	v_fmac_f32_e32 v32, v44, v39
	v_add_f32_e32 v10, v10, v29
	v_add_f32_e32 v9, v9, v30
	;; [unrolled: 1-line block ×4, first 2 shown]
	v_mul_f32_e32 v11, s13, v10
	v_mul_f32_e32 v29, s13, v9
	v_fma_f32 v9, s12, v9, -v11
	v_fmac_f32_e32 v29, s12, v10
	s_waitcnt vmcnt(0)
	v_add_f32_e32 v7, v7, v9
	v_add_f32_e32 v8, v8, v29
	flat_store_dwordx2 v[3:4], v[7:8]
	s_branch .LBB57_6
.LBB57_21:
	s_endpgm
	.section	.rodata,"a",@progbits
	.p2align	6, 0x0
	.amdhsa_kernel _ZL24rocblas_symm_hemm_kernelILb1ELb1ELi32EPK19rocblas_complex_numIfEPKS3_PKPS1_EvbiiT2_T3_lllSA_lllT4_llli
		.amdhsa_group_segment_fixed_size 16384
		.amdhsa_private_segment_fixed_size 0
		.amdhsa_kernarg_size 384
		.amdhsa_user_sgpr_count 6
		.amdhsa_user_sgpr_private_segment_buffer 1
		.amdhsa_user_sgpr_dispatch_ptr 0
		.amdhsa_user_sgpr_queue_ptr 0
		.amdhsa_user_sgpr_kernarg_segment_ptr 1
		.amdhsa_user_sgpr_dispatch_id 0
		.amdhsa_user_sgpr_flat_scratch_init 0
		.amdhsa_user_sgpr_private_segment_size 0
		.amdhsa_wavefront_size32 1
		.amdhsa_uses_dynamic_stack 0
		.amdhsa_system_sgpr_private_segment_wavefront_offset 0
		.amdhsa_system_sgpr_workgroup_id_x 1
		.amdhsa_system_sgpr_workgroup_id_y 1
		.amdhsa_system_sgpr_workgroup_id_z 1
		.amdhsa_system_sgpr_workgroup_info 0
		.amdhsa_system_vgpr_workitem_id 1
		.amdhsa_next_free_vgpr 101
		.amdhsa_next_free_sgpr 30
		.amdhsa_reserve_vcc 1
		.amdhsa_reserve_flat_scratch 0
		.amdhsa_float_round_mode_32 0
		.amdhsa_float_round_mode_16_64 0
		.amdhsa_float_denorm_mode_32 3
		.amdhsa_float_denorm_mode_16_64 3
		.amdhsa_dx10_clamp 1
		.amdhsa_ieee_mode 1
		.amdhsa_fp16_overflow 0
		.amdhsa_workgroup_processor_mode 1
		.amdhsa_memory_ordered 1
		.amdhsa_forward_progress 1
		.amdhsa_shared_vgpr_count 0
		.amdhsa_exception_fp_ieee_invalid_op 0
		.amdhsa_exception_fp_denorm_src 0
		.amdhsa_exception_fp_ieee_div_zero 0
		.amdhsa_exception_fp_ieee_overflow 0
		.amdhsa_exception_fp_ieee_underflow 0
		.amdhsa_exception_fp_ieee_inexact 0
		.amdhsa_exception_int_div_zero 0
	.end_amdhsa_kernel
	.section	.text._ZL24rocblas_symm_hemm_kernelILb1ELb1ELi32EPK19rocblas_complex_numIfEPKS3_PKPS1_EvbiiT2_T3_lllSA_lllT4_llli,"axG",@progbits,_ZL24rocblas_symm_hemm_kernelILb1ELb1ELi32EPK19rocblas_complex_numIfEPKS3_PKPS1_EvbiiT2_T3_lllSA_lllT4_llli,comdat
.Lfunc_end57:
	.size	_ZL24rocblas_symm_hemm_kernelILb1ELb1ELi32EPK19rocblas_complex_numIfEPKS3_PKPS1_EvbiiT2_T3_lllSA_lllT4_llli, .Lfunc_end57-_ZL24rocblas_symm_hemm_kernelILb1ELb1ELi32EPK19rocblas_complex_numIfEPKS3_PKPS1_EvbiiT2_T3_lllSA_lllT4_llli
                                        ; -- End function
	.set _ZL24rocblas_symm_hemm_kernelILb1ELb1ELi32EPK19rocblas_complex_numIfEPKS3_PKPS1_EvbiiT2_T3_lllSA_lllT4_llli.num_vgpr, 101
	.set _ZL24rocblas_symm_hemm_kernelILb1ELb1ELi32EPK19rocblas_complex_numIfEPKS3_PKPS1_EvbiiT2_T3_lllSA_lllT4_llli.num_agpr, 0
	.set _ZL24rocblas_symm_hemm_kernelILb1ELb1ELi32EPK19rocblas_complex_numIfEPKS3_PKPS1_EvbiiT2_T3_lllSA_lllT4_llli.numbered_sgpr, 30
	.set _ZL24rocblas_symm_hemm_kernelILb1ELb1ELi32EPK19rocblas_complex_numIfEPKS3_PKPS1_EvbiiT2_T3_lllSA_lllT4_llli.num_named_barrier, 0
	.set _ZL24rocblas_symm_hemm_kernelILb1ELb1ELi32EPK19rocblas_complex_numIfEPKS3_PKPS1_EvbiiT2_T3_lllSA_lllT4_llli.private_seg_size, 0
	.set _ZL24rocblas_symm_hemm_kernelILb1ELb1ELi32EPK19rocblas_complex_numIfEPKS3_PKPS1_EvbiiT2_T3_lllSA_lllT4_llli.uses_vcc, 1
	.set _ZL24rocblas_symm_hemm_kernelILb1ELb1ELi32EPK19rocblas_complex_numIfEPKS3_PKPS1_EvbiiT2_T3_lllSA_lllT4_llli.uses_flat_scratch, 0
	.set _ZL24rocblas_symm_hemm_kernelILb1ELb1ELi32EPK19rocblas_complex_numIfEPKS3_PKPS1_EvbiiT2_T3_lllSA_lllT4_llli.has_dyn_sized_stack, 0
	.set _ZL24rocblas_symm_hemm_kernelILb1ELb1ELi32EPK19rocblas_complex_numIfEPKS3_PKPS1_EvbiiT2_T3_lllSA_lllT4_llli.has_recursion, 0
	.set _ZL24rocblas_symm_hemm_kernelILb1ELb1ELi32EPK19rocblas_complex_numIfEPKS3_PKPS1_EvbiiT2_T3_lllSA_lllT4_llli.has_indirect_call, 0
	.section	.AMDGPU.csdata,"",@progbits
; Kernel info:
; codeLenInByte = 2304
; TotalNumSgprs: 32
; NumVgprs: 101
; ScratchSize: 0
; MemoryBound: 0
; FloatMode: 240
; IeeeMode: 1
; LDSByteSize: 16384 bytes/workgroup (compile time only)
; SGPRBlocks: 0
; VGPRBlocks: 12
; NumSGPRsForWavesPerEU: 32
; NumVGPRsForWavesPerEU: 101
; Occupancy: 9
; WaveLimiterHint : 1
; COMPUTE_PGM_RSRC2:SCRATCH_EN: 0
; COMPUTE_PGM_RSRC2:USER_SGPR: 6
; COMPUTE_PGM_RSRC2:TRAP_HANDLER: 0
; COMPUTE_PGM_RSRC2:TGID_X_EN: 1
; COMPUTE_PGM_RSRC2:TGID_Y_EN: 1
; COMPUTE_PGM_RSRC2:TGID_Z_EN: 1
; COMPUTE_PGM_RSRC2:TIDIG_COMP_CNT: 1
	.section	.text._ZL24rocblas_symm_hemm_kernelILb1ELb0ELi32E19rocblas_complex_numIfEPKPKS1_PKPS1_EvbiiT2_T3_lllSA_lllT4_llli,"axG",@progbits,_ZL24rocblas_symm_hemm_kernelILb1ELb0ELi32E19rocblas_complex_numIfEPKPKS1_PKPS1_EvbiiT2_T3_lllSA_lllT4_llli,comdat
	.globl	_ZL24rocblas_symm_hemm_kernelILb1ELb0ELi32E19rocblas_complex_numIfEPKPKS1_PKPS1_EvbiiT2_T3_lllSA_lllT4_llli ; -- Begin function _ZL24rocblas_symm_hemm_kernelILb1ELb0ELi32E19rocblas_complex_numIfEPKPKS1_PKPS1_EvbiiT2_T3_lllSA_lllT4_llli
	.p2align	8
	.type	_ZL24rocblas_symm_hemm_kernelILb1ELb0ELi32E19rocblas_complex_numIfEPKPKS1_PKPS1_EvbiiT2_T3_lllSA_lllT4_llli,@function
_ZL24rocblas_symm_hemm_kernelILb1ELb0ELi32E19rocblas_complex_numIfEPKPKS1_PKPS1_EvbiiT2_T3_lllSA_lllT4_llli: ; @_ZL24rocblas_symm_hemm_kernelILb1ELb0ELi32E19rocblas_complex_numIfEPKPKS1_PKPS1_EvbiiT2_T3_lllSA_lllT4_llli
; %bb.0:
	s_clause 0x1
	s_load_dwordx4 s[12:15], s[4:5], 0x0
	s_load_dword s24, s[4:5], 0x10
	s_waitcnt lgkmcnt(0)
	v_cmp_eq_f32_e64 s0, s15, 0
	v_cmp_eq_f32_e64 s1, s24, 0
	s_and_b32 s0, s0, s1
	s_and_b32 vcc_lo, exec_lo, s0
	s_cbranch_vccnz .LBB58_21
; %bb.1:
	s_add_i32 s0, s14, -1
	s_ashr_i32 s1, s0, 31
	s_lshr_b32 s1, s1, 27
	s_add_i32 s0, s0, s1
	s_ashr_i32 s25, s0, 5
	s_cmp_gt_i32 s7, s25
	s_cbranch_scc1 .LBB58_21
; %bb.2:
	s_clause 0x1
	s_load_dwordx4 s[0:3], s[4:5], 0x18
	s_load_dwordx4 s[16:19], s[4:5], 0x38
	s_mov_b32 s9, 0
	s_clause 0x1
	s_load_dwordx2 s[20:21], s[4:5], 0x28
	s_load_dwordx2 s[22:23], s[4:5], 0x48
	s_lshl_b64 s[26:27], s[8:9], 3
	v_lshl_add_u32 v2, s6, 5, v0
	v_lshlrev_b32_e32 v6, 3, v1
	v_lshlrev_b32_e32 v13, 8, v0
	v_ashrrev_i32_e32 v3, 31, v2
	v_or_b32_e32 v14, 0x2000, v6
	v_add_nc_u32_e32 v15, v13, v6
	v_lshlrev_b64 v[6:7], 3, v[2:3]
	v_add_nc_u32_e32 v16, v14, v13
	v_add_nc_u32_e32 v17, 0x800, v14
	;; [unrolled: 1-line block ×3, first 2 shown]
	s_waitcnt lgkmcnt(0)
	s_add_u32 s0, s0, s26
	s_addc_u32 s1, s1, s27
	s_add_u32 s8, s16, s26
	s_addc_u32 s9, s17, s27
	s_lshl_b64 s[18:19], s[18:19], 3
	s_load_dwordx2 s[16:17], s[8:9], 0x0
	s_load_dwordx4 s[8:11], s[4:5], 0x58
	v_mul_lo_u32 v8, s20, v3
	v_mul_lo_u32 v9, s21, v2
	v_mad_u64_u32 v[4:5], null, s20, v2, 0
	v_add_nc_u32_e32 v25, 0x1800, v14
	v_add3_u32 v5, v5, v8, v9
	v_lshlrev_b64 v[3:4], 3, v[4:5]
	s_waitcnt lgkmcnt(0)
	s_add_u32 s6, s16, s18
	s_addc_u32 s16, s17, s19
	s_add_u32 s8, s8, s26
	s_addc_u32 s9, s9, s27
	s_bitcmp1_b32 s12, 0
	s_load_dwordx2 s[18:19], s[8:9], 0x0
	s_load_dwordx2 s[8:9], s[4:5], 0x68
	;; [unrolled: 1-line block ×3, first 2 shown]
	s_load_dword s4, s[4:5], 0x84
	s_cselect_b32 s1, -1, 0
	s_lshl_b64 s[10:11], s[10:11], 3
	v_cmp_gt_i32_e64 s0, s13, v2
	s_waitcnt lgkmcnt(0)
	s_add_u32 s5, s18, s10
	s_addc_u32 s10, s19, s11
	s_lshl_b64 s[2:3], s[2:3], 3
	v_add_co_u32 v19, vcc_lo, s5, v6
	s_add_u32 s2, s26, s2
	v_add_co_ci_u32_e64 v20, null, s10, v7, vcc_lo
	s_addc_u32 s3, s27, s3
	v_add_co_u32 v21, vcc_lo, s2, v6
	v_add_co_ci_u32_e64 v22, null, s3, v7, vcc_lo
	v_add_co_u32 v23, vcc_lo, s2, v3
	v_add_co_ci_u32_e64 v24, null, s3, v4, vcc_lo
	;; [unrolled: 2-line block ×3, first 2 shown]
	s_cmp_gt_i32 s13, 0
	s_cselect_b32 s5, -1, 0
	s_branch .LBB58_4
.LBB58_3:                               ;   in Loop: Header=BB58_4 Depth=1
	s_add_i32 s7, s7, s4
	s_cmp_gt_i32 s7, s25
	s_cbranch_scc1 .LBB58_21
.LBB58_4:                               ; =>This Loop Header: Depth=1
                                        ;     Child Loop BB58_7 Depth 2
	s_andn2_b32 vcc_lo, exec_lo, s5
	s_cbranch_vccnz .LBB58_3
; %bb.5:                                ;   in Loop: Header=BB58_4 Depth=1
	v_lshl_add_u32 v9, s7, 5, v1
	s_mov_b32 s11, 0
	v_ashrrev_i32_e32 v10, 31, v9
	v_mul_lo_u32 v11, s23, v9
	v_mad_u64_u32 v[5:6], null, s22, v9, 0
	v_mul_lo_u32 v26, s9, v9
	v_mul_lo_u32 v12, s22, v10
	v_mad_u64_u32 v[7:8], null, s8, v9, 0
	v_mul_lo_u32 v10, s8, v10
	v_cmp_gt_i32_e32 vcc_lo, s14, v9
	v_add3_u32 v6, v6, v12, v11
	s_and_b32 s10, s0, vcc_lo
	v_add3_u32 v8, v8, v10, v26
	v_lshlrev_b64 v[5:6], 3, v[5:6]
	v_lshlrev_b64 v[7:8], 3, v[7:8]
	v_add_co_u32 v26, s2, s6, v5
	v_add_co_ci_u32_e64 v27, null, s16, v6, s2
	v_add_co_u32 v5, s2, v19, v7
	v_add_co_ci_u32_e64 v6, null, v20, v8, s2
	s_branch .LBB58_7
.LBB58_6:                               ;   in Loop: Header=BB58_7 Depth=2
	s_or_b32 exec_lo, exec_lo, s2
	s_add_i32 s11, s11, 32
	s_waitcnt lgkmcnt(0)
	s_waitcnt_vscnt null, 0x0
	s_cmp_ge_i32 s11, s13
	s_barrier
	buffer_gl0_inv
	s_cbranch_scc1 .LBB58_3
.LBB58_7:                               ;   Parent Loop BB58_4 Depth=1
                                        ; =>  This Inner Loop Header: Depth=2
	v_add_nc_u32_e32 v8, s11, v1
	s_mov_b32 s12, exec_lo
	v_cndmask_b32_e64 v10, v8, v2, s1
	v_cndmask_b32_e64 v11, v2, v8, s1
	v_cmp_gt_i32_e64 s2, v10, v11
	v_cndmask_b32_e64 v7, v2, v8, s2
	v_cndmask_b32_e64 v9, v8, v2, s2
	v_cmp_le_i32_e64 s2, v10, v11
	v_mov_b32_e32 v10, 0
	v_max_i32_e32 v12, v7, v9
	v_mov_b32_e32 v7, 0
	v_mov_b32_e32 v9, 0
	v_cmpx_gt_i32_e64 s13, v12
	s_cbranch_execz .LBB58_17
; %bb.8:                                ;   in Loop: Header=BB58_7 Depth=2
                                        ; implicit-def: $vgpr10
	s_and_saveexec_b32 s3, s2
	s_xor_b32 s3, exec_lo, s3
	s_cbranch_execz .LBB58_14
; %bb.9:                                ;   in Loop: Header=BB58_7 Depth=2
	s_mov_b32 s17, exec_lo
                                        ; implicit-def: $vgpr10
	v_cmpx_ne_u32_e64 v8, v2
	s_xor_b32 s17, exec_lo, s17
	s_cbranch_execz .LBB58_11
; %bb.10:                               ;   in Loop: Header=BB58_7 Depth=2
	v_ashrrev_i32_e32 v10, 31, v8
	v_mul_lo_u32 v11, s21, v8
	v_mad_u64_u32 v[8:9], null, s20, v8, 0
	v_mul_lo_u32 v10, s20, v10
	v_add3_u32 v9, v9, v10, v11
	v_lshlrev_b64 v[8:9], 3, v[8:9]
	v_add_co_u32 v8, s2, v21, v8
	v_add_co_ci_u32_e64 v9, null, v22, v9, s2
	flat_load_dwordx2 v[9:10], v[8:9]
.LBB58_11:                              ;   in Loop: Header=BB58_7 Depth=2
	s_andn2_saveexec_b32 s2, s17
	s_cbranch_execz .LBB58_13
; %bb.12:                               ;   in Loop: Header=BB58_7 Depth=2
	s_waitcnt vmcnt(0) lgkmcnt(0)
	flat_load_dword v9, v[3:4]
	v_mov_b32_e32 v10, 0
.LBB58_13:                              ;   in Loop: Header=BB58_7 Depth=2
	s_or_b32 exec_lo, exec_lo, s2
                                        ; implicit-def: $vgpr8
.LBB58_14:                              ;   in Loop: Header=BB58_7 Depth=2
	s_andn2_saveexec_b32 s3, s3
	s_cbranch_execz .LBB58_16
; %bb.15:                               ;   in Loop: Header=BB58_7 Depth=2
	s_waitcnt vmcnt(0) lgkmcnt(0)
	v_ashrrev_i32_e32 v9, 31, v8
	v_lshlrev_b64 v[8:9], 3, v[8:9]
	v_add_co_u32 v8, s2, v23, v8
	v_add_co_ci_u32_e64 v9, null, v24, v9, s2
	flat_load_dwordx2 v[9:10], v[8:9]
	s_waitcnt vmcnt(0) lgkmcnt(0)
	v_xor_b32_e32 v10, 0x80000000, v10
.LBB58_16:                              ;   in Loop: Header=BB58_7 Depth=2
	s_or_b32 exec_lo, exec_lo, s3
.LBB58_17:                              ;   in Loop: Header=BB58_7 Depth=2
	s_or_b32 exec_lo, exec_lo, s12
	v_add_nc_u32_e32 v11, s11, v0
	v_mov_b32_e32 v8, 0
	s_waitcnt vmcnt(0) lgkmcnt(0)
	ds_write_b64 v15, v[9:10]
	v_cmp_gt_i32_e64 s2, s13, v11
	s_and_b32 s2, s2, vcc_lo
	s_and_saveexec_b32 s3, s2
	s_cbranch_execz .LBB58_19
; %bb.18:                               ;   in Loop: Header=BB58_7 Depth=2
	v_ashrrev_i32_e32 v12, 31, v11
	v_lshlrev_b64 v[7:8], 3, v[11:12]
	v_add_co_u32 v7, s2, v26, v7
	v_add_co_ci_u32_e64 v8, null, v27, v8, s2
	flat_load_dwordx2 v[7:8], v[7:8]
.LBB58_19:                              ;   in Loop: Header=BB58_7 Depth=2
	s_or_b32 exec_lo, exec_lo, s3
	s_waitcnt vmcnt(0) lgkmcnt(0)
	ds_write_b64 v16, v[7:8]
	s_waitcnt lgkmcnt(0)
	s_barrier
	buffer_gl0_inv
	s_and_saveexec_b32 s2, s10
	s_cbranch_execz .LBB58_6
; %bb.20:                               ;   in Loop: Header=BB58_7 Depth=2
	flat_load_dwordx2 v[7:8], v[5:6]
	ds_read2_b64 v[9:12], v14 offset1:32
	ds_read_b128 v[28:31], v13
	ds_read_b128 v[32:35], v13 offset:16
	ds_read2_b64 v[36:39], v14 offset0:64 offset1:96
	ds_read2_b64 v[40:43], v14 offset0:128 offset1:160
	ds_read_b128 v[44:47], v13 offset:32
	ds_read_b128 v[48:51], v13 offset:48
	ds_read2_b64 v[52:55], v14 offset0:192 offset1:224
	ds_read2_b64 v[56:59], v17 offset1:32
	ds_read_b128 v[60:63], v13 offset:64
	ds_read_b128 v[64:67], v13 offset:80
	ds_read2_b64 v[68:71], v17 offset0:64 offset1:96
	ds_read2_b64 v[72:75], v17 offset0:128 offset1:160
	ds_read_b128 v[76:79], v13 offset:96
	ds_read_b128 v[80:83], v13 offset:112
	s_waitcnt lgkmcnt(13)
	v_mul_f32_e32 v84, v10, v29
	v_mul_f32_e32 v85, v9, v29
	;; [unrolled: 1-line block ×3, first 2 shown]
	s_waitcnt lgkmcnt(11)
	v_mul_f32_e32 v88, v36, v33
	v_mul_f32_e32 v29, v12, v31
	v_fma_f32 v84, v9, v28, -v84
	v_fmac_f32_e32 v85, v10, v28
	v_mul_f32_e32 v28, v37, v33
	s_waitcnt lgkmcnt(9)
	v_mul_f32_e32 v33, v41, v45
	v_fmac_f32_e32 v86, v12, v30
	v_mul_f32_e32 v90, v40, v45
	v_fma_f32 v87, v11, v30, -v29
	v_mul_f32_e32 v29, v39, v35
	v_fma_f32 v94, v40, v44, -v33
	v_add_f32_e32 v40, 0, v85
	v_fmac_f32_e32 v90, v41, v44
	s_waitcnt lgkmcnt(7)
	v_mul_f32_e32 v41, v53, v49
	v_mul_f32_e32 v85, v52, v49
	;; [unrolled: 1-line block ×3, first 2 shown]
	v_add_f32_e32 v44, v40, v86
	v_add_f32_e32 v40, 0, v84
	v_fma_f32 v91, v36, v32, -v28
	v_fmac_f32_e32 v88, v37, v32
	v_fma_f32 v84, v52, v48, -v41
	v_fmac_f32_e32 v85, v53, v48
	v_add_f32_e32 v48, v40, v87
	v_mul_f32_e32 v35, v43, v47
	v_fma_f32 v92, v38, v34, -v29
	v_fmac_f32_e32 v89, v39, v34
	v_add_f32_e32 v49, v44, v88
	v_add_f32_e32 v48, v48, v91
	v_mul_f32_e32 v93, v42, v47
	v_fma_f32 v95, v42, v46, -v35
	v_mul_f32_e32 v42, v55, v51
	v_mul_f32_e32 v86, v54, v51
	s_waitcnt lgkmcnt(5)
	v_mul_f32_e32 v87, v56, v61
	v_add_f32_e32 v49, v49, v89
	v_add_f32_e32 v48, v48, v92
	ds_read2_b64 v[9:12], v17 offset0:192 offset1:224
	v_fmac_f32_e32 v93, v43, v46
	v_fma_f32 v96, v54, v50, -v42
	v_fmac_f32_e32 v86, v55, v50
	v_mul_f32_e32 v50, v57, v61
	s_waitcnt lgkmcnt(4)
	v_mul_f32_e32 v61, v69, v65
	v_add_f32_e32 v49, v49, v90
	v_mul_f32_e32 v89, v68, v65
	v_fmac_f32_e32 v87, v57, v60
	v_add_f32_e32 v57, v48, v94
	v_fma_f32 v65, v56, v60, -v50
	v_mul_f32_e32 v56, v71, v67
	v_mul_f32_e32 v91, v70, v67
	v_add_f32_e32 v60, v49, v93
	v_fma_f32 v92, v68, v64, -v61
	v_fmac_f32_e32 v89, v69, v64
	v_add_f32_e32 v64, v57, v95
	ds_read2_b64 v[28:31], v18 offset1:32
	v_fma_f32 v93, v70, v66, -v56
	v_fmac_f32_e32 v91, v71, v66
	v_add_f32_e32 v66, v60, v85
	v_add_f32_e32 v64, v64, v84
	ds_read_b128 v[32:35], v13 offset:128
	ds_read_b128 v[36:39], v13 offset:144
	v_mul_f32_e32 v51, v59, v63
	v_mul_f32_e32 v88, v58, v63
	s_waitcnt lgkmcnt(5)
	v_mul_f32_e32 v67, v73, v77
	v_mul_f32_e32 v77, v72, v77
	v_add_f32_e32 v66, v66, v86
	v_add_f32_e32 v64, v64, v96
	ds_read2_b64 v[40:43], v18 offset0:64 offset1:96
	v_fma_f32 v90, v58, v62, -v51
	v_fmac_f32_e32 v88, v59, v62
	v_mul_f32_e32 v68, v75, v79
	v_mul_f32_e32 v79, v74, v79
	s_waitcnt lgkmcnt(4)
	v_mul_f32_e32 v84, v10, v81
	v_add_f32_e32 v66, v66, v87
	v_mul_f32_e32 v81, v9, v81
	v_fma_f32 v85, v72, v76, -v67
	v_fmac_f32_e32 v77, v73, v76
	v_mul_f32_e32 v72, v12, v83
	v_add_f32_e32 v73, v64, v65
	v_fma_f32 v76, v74, v78, -v68
	v_fmac_f32_e32 v79, v75, v78
	v_mul_f32_e32 v78, v11, v83
	v_add_f32_e32 v74, v66, v88
	v_fma_f32 v83, v9, v80, -v84
	v_fmac_f32_e32 v81, v10, v80
	v_fma_f32 v80, v11, v82, -v72
	v_add_f32_e32 v72, v73, v90
	v_fmac_f32_e32 v78, v12, v82
	s_waitcnt lgkmcnt(2)
	v_mul_f32_e32 v82, v29, v33
	v_add_f32_e32 v73, v74, v89
	v_mul_f32_e32 v84, v28, v33
	v_mul_f32_e32 v33, v31, v35
	;; [unrolled: 1-line block ×3, first 2 shown]
	v_add_f32_e32 v35, v72, v92
	v_add_f32_e32 v87, v73, v91
	s_waitcnt lgkmcnt(0)
	v_mul_f32_e32 v90, v40, v37
	ds_read2_b64 v[44:47], v18 offset0:128 offset1:160
	ds_read_b128 v[48:51], v13 offset:160
	ds_read_b128 v[52:55], v13 offset:176
	v_add_f32_e32 v89, v35, v93
	v_add_f32_e32 v77, v87, v77
	v_mul_f32_e32 v87, v41, v37
	v_fmac_f32_e32 v90, v41, v36
	v_fma_f32 v82, v28, v32, -v82
	v_add_f32_e32 v37, v89, v85
	v_mul_f32_e32 v85, v43, v39
	v_add_f32_e32 v77, v77, v79
	v_mul_f32_e32 v79, v42, v39
	v_fmac_f32_e32 v84, v29, v32
	ds_read2_b64 v[56:59], v18 offset0:192 offset1:224
	v_fma_f32 v41, v42, v38, -v85
	v_add_f32_e32 v42, v37, v76
	v_add_f32_e32 v76, v77, v81
	v_fma_f32 v88, v30, v34, -v33
	v_fmac_f32_e32 v86, v31, v34
	v_fma_f32 v40, v40, v36, -v87
	v_add_f32_e32 v42, v42, v83
	v_add_f32_e32 v76, v76, v78
	ds_read2_b64 v[60:63], v25 offset1:32
	v_fmac_f32_e32 v79, v43, v38
	s_waitcnt lgkmcnt(3)
	v_mul_f32_e32 v43, v45, v49
	v_add_f32_e32 v42, v42, v80
	v_add_f32_e32 v76, v76, v84
	v_mul_f32_e32 v49, v44, v49
	ds_read_b128 v[64:67], v13 offset:192
	ds_read_b128 v[68:71], v13 offset:208
	v_mul_f32_e32 v77, v47, v51
	v_add_f32_e32 v42, v42, v82
	v_add_f32_e32 v76, v76, v86
	v_mul_f32_e32 v51, v46, v51
	v_fma_f32 v43, v44, v48, -v43
	v_fmac_f32_e32 v49, v45, v48
	v_add_f32_e32 v42, v42, v88
	v_add_f32_e32 v76, v76, v90
	ds_read2_b64 v[9:12], v25 offset0:64 offset1:96
	s_waitcnt lgkmcnt(4)
	v_mul_f32_e32 v78, v57, v53
	v_mul_f32_e32 v53, v56, v53
	v_add_f32_e32 v40, v42, v40
	v_add_f32_e32 v44, v76, v79
	v_fma_f32 v45, v46, v50, -v77
	v_fmac_f32_e32 v51, v47, v50
	v_mul_f32_e32 v80, v59, v55
	v_add_f32_e32 v40, v40, v41
	v_add_f32_e32 v44, v44, v49
	v_mul_f32_e32 v55, v58, v55
	v_fma_f32 v46, v56, v52, -v78
	v_fmac_f32_e32 v53, v57, v52
	v_add_f32_e32 v40, v40, v43
	v_add_f32_e32 v44, v44, v51
	ds_read2_b64 v[72:75], v25 offset0:128 offset1:160
	s_waitcnt lgkmcnt(3)
	v_mul_f32_e32 v81, v61, v65
	v_mul_f32_e32 v65, v60, v65
	v_add_f32_e32 v40, v40, v45
	v_fma_f32 v47, v58, v54, -v80
	v_fmac_f32_e32 v55, v59, v54
	v_add_f32_e32 v44, v44, v53
	ds_read_b128 v[28:31], v13 offset:224
	ds_read_b128 v[32:35], v13 offset:240
	v_add_f32_e32 v40, v40, v46
	ds_read2_b64 v[36:39], v25 offset0:192 offset1:224
	v_mul_f32_e32 v82, v63, v67
	v_mul_f32_e32 v67, v62, v67
	v_fmac_f32_e32 v65, v61, v64
	v_fma_f32 v46, v60, v64, -v81
	v_add_f32_e32 v44, v44, v55
	v_add_f32_e32 v40, v40, v47
	s_waitcnt lgkmcnt(4)
	v_mul_f32_e32 v83, v10, v69
	v_mul_f32_e32 v42, v9, v69
	v_fma_f32 v48, v62, v66, -v82
	v_fmac_f32_e32 v67, v63, v66
	v_add_f32_e32 v44, v44, v65
	v_add_f32_e32 v40, v40, v46
	v_mul_f32_e32 v41, v12, v71
	v_mul_f32_e32 v43, v11, v71
	v_fma_f32 v9, v9, v68, -v83
	v_fmac_f32_e32 v42, v10, v68
	v_add_f32_e32 v10, v44, v67
	v_add_f32_e32 v40, v40, v48
	s_waitcnt lgkmcnt(2)
	v_mul_f32_e32 v45, v73, v29
	v_mul_f32_e32 v29, v72, v29
	v_fma_f32 v11, v11, v70, -v41
	v_fmac_f32_e32 v43, v12, v70
	v_add_f32_e32 v10, v10, v42
	v_add_f32_e32 v9, v40, v9
	v_mul_f32_e32 v47, v75, v31
	v_mul_f32_e32 v31, v74, v31
	s_waitcnt lgkmcnt(0)
	v_mul_f32_e32 v44, v37, v33
	v_mul_f32_e32 v12, v36, v33
	v_fma_f32 v33, v72, v28, -v45
	v_fmac_f32_e32 v29, v73, v28
	v_add_f32_e32 v10, v10, v43
	v_add_f32_e32 v9, v9, v11
	v_fma_f32 v28, v74, v30, -v47
	v_fmac_f32_e32 v31, v75, v30
	v_mul_f32_e32 v11, v39, v35
	v_add_f32_e32 v10, v10, v29
	v_add_f32_e32 v9, v9, v33
	v_mul_f32_e32 v29, v38, v35
	v_fma_f32 v30, v36, v32, -v44
	v_fmac_f32_e32 v12, v37, v32
	v_add_f32_e32 v10, v10, v31
	v_add_f32_e32 v9, v9, v28
	v_fma_f32 v11, v38, v34, -v11
	v_fmac_f32_e32 v29, v39, v34
	v_add_f32_e32 v10, v10, v12
	v_add_f32_e32 v9, v9, v30
	;; [unrolled: 1-line block ×4, first 2 shown]
	v_mul_f32_e32 v11, s24, v10
	v_mul_f32_e32 v12, s24, v9
	v_fma_f32 v9, s15, v9, -v11
	v_fmac_f32_e32 v12, s15, v10
	s_waitcnt vmcnt(0)
	v_add_f32_e32 v7, v7, v9
	v_add_f32_e32 v8, v8, v12
	flat_store_dwordx2 v[5:6], v[7:8]
	s_branch .LBB58_6
.LBB58_21:
	s_endpgm
	.section	.rodata,"a",@progbits
	.p2align	6, 0x0
	.amdhsa_kernel _ZL24rocblas_symm_hemm_kernelILb1ELb0ELi32E19rocblas_complex_numIfEPKPKS1_PKPS1_EvbiiT2_T3_lllSA_lllT4_llli
		.amdhsa_group_segment_fixed_size 16384
		.amdhsa_private_segment_fixed_size 0
		.amdhsa_kernarg_size 384
		.amdhsa_user_sgpr_count 6
		.amdhsa_user_sgpr_private_segment_buffer 1
		.amdhsa_user_sgpr_dispatch_ptr 0
		.amdhsa_user_sgpr_queue_ptr 0
		.amdhsa_user_sgpr_kernarg_segment_ptr 1
		.amdhsa_user_sgpr_dispatch_id 0
		.amdhsa_user_sgpr_flat_scratch_init 0
		.amdhsa_user_sgpr_private_segment_size 0
		.amdhsa_wavefront_size32 1
		.amdhsa_uses_dynamic_stack 0
		.amdhsa_system_sgpr_private_segment_wavefront_offset 0
		.amdhsa_system_sgpr_workgroup_id_x 1
		.amdhsa_system_sgpr_workgroup_id_y 1
		.amdhsa_system_sgpr_workgroup_id_z 1
		.amdhsa_system_sgpr_workgroup_info 0
		.amdhsa_system_vgpr_workitem_id 1
		.amdhsa_next_free_vgpr 97
		.amdhsa_next_free_sgpr 28
		.amdhsa_reserve_vcc 1
		.amdhsa_reserve_flat_scratch 0
		.amdhsa_float_round_mode_32 0
		.amdhsa_float_round_mode_16_64 0
		.amdhsa_float_denorm_mode_32 3
		.amdhsa_float_denorm_mode_16_64 3
		.amdhsa_dx10_clamp 1
		.amdhsa_ieee_mode 1
		.amdhsa_fp16_overflow 0
		.amdhsa_workgroup_processor_mode 1
		.amdhsa_memory_ordered 1
		.amdhsa_forward_progress 1
		.amdhsa_shared_vgpr_count 0
		.amdhsa_exception_fp_ieee_invalid_op 0
		.amdhsa_exception_fp_denorm_src 0
		.amdhsa_exception_fp_ieee_div_zero 0
		.amdhsa_exception_fp_ieee_overflow 0
		.amdhsa_exception_fp_ieee_underflow 0
		.amdhsa_exception_fp_ieee_inexact 0
		.amdhsa_exception_int_div_zero 0
	.end_amdhsa_kernel
	.section	.text._ZL24rocblas_symm_hemm_kernelILb1ELb0ELi32E19rocblas_complex_numIfEPKPKS1_PKPS1_EvbiiT2_T3_lllSA_lllT4_llli,"axG",@progbits,_ZL24rocblas_symm_hemm_kernelILb1ELb0ELi32E19rocblas_complex_numIfEPKPKS1_PKPS1_EvbiiT2_T3_lllSA_lllT4_llli,comdat
.Lfunc_end58:
	.size	_ZL24rocblas_symm_hemm_kernelILb1ELb0ELi32E19rocblas_complex_numIfEPKPKS1_PKPS1_EvbiiT2_T3_lllSA_lllT4_llli, .Lfunc_end58-_ZL24rocblas_symm_hemm_kernelILb1ELb0ELi32E19rocblas_complex_numIfEPKPKS1_PKPS1_EvbiiT2_T3_lllSA_lllT4_llli
                                        ; -- End function
	.set _ZL24rocblas_symm_hemm_kernelILb1ELb0ELi32E19rocblas_complex_numIfEPKPKS1_PKPS1_EvbiiT2_T3_lllSA_lllT4_llli.num_vgpr, 97
	.set _ZL24rocblas_symm_hemm_kernelILb1ELb0ELi32E19rocblas_complex_numIfEPKPKS1_PKPS1_EvbiiT2_T3_lllSA_lllT4_llli.num_agpr, 0
	.set _ZL24rocblas_symm_hemm_kernelILb1ELb0ELi32E19rocblas_complex_numIfEPKPKS1_PKPS1_EvbiiT2_T3_lllSA_lllT4_llli.numbered_sgpr, 28
	.set _ZL24rocblas_symm_hemm_kernelILb1ELb0ELi32E19rocblas_complex_numIfEPKPKS1_PKPS1_EvbiiT2_T3_lllSA_lllT4_llli.num_named_barrier, 0
	.set _ZL24rocblas_symm_hemm_kernelILb1ELb0ELi32E19rocblas_complex_numIfEPKPKS1_PKPS1_EvbiiT2_T3_lllSA_lllT4_llli.private_seg_size, 0
	.set _ZL24rocblas_symm_hemm_kernelILb1ELb0ELi32E19rocblas_complex_numIfEPKPKS1_PKPS1_EvbiiT2_T3_lllSA_lllT4_llli.uses_vcc, 1
	.set _ZL24rocblas_symm_hemm_kernelILb1ELb0ELi32E19rocblas_complex_numIfEPKPKS1_PKPS1_EvbiiT2_T3_lllSA_lllT4_llli.uses_flat_scratch, 0
	.set _ZL24rocblas_symm_hemm_kernelILb1ELb0ELi32E19rocblas_complex_numIfEPKPKS1_PKPS1_EvbiiT2_T3_lllSA_lllT4_llli.has_dyn_sized_stack, 0
	.set _ZL24rocblas_symm_hemm_kernelILb1ELb0ELi32E19rocblas_complex_numIfEPKPKS1_PKPS1_EvbiiT2_T3_lllSA_lllT4_llli.has_recursion, 0
	.set _ZL24rocblas_symm_hemm_kernelILb1ELb0ELi32E19rocblas_complex_numIfEPKPKS1_PKPS1_EvbiiT2_T3_lllSA_lllT4_llli.has_indirect_call, 0
	.section	.AMDGPU.csdata,"",@progbits
; Kernel info:
; codeLenInByte = 2312
; TotalNumSgprs: 30
; NumVgprs: 97
; ScratchSize: 0
; MemoryBound: 0
; FloatMode: 240
; IeeeMode: 1
; LDSByteSize: 16384 bytes/workgroup (compile time only)
; SGPRBlocks: 0
; VGPRBlocks: 12
; NumSGPRsForWavesPerEU: 30
; NumVGPRsForWavesPerEU: 97
; Occupancy: 9
; WaveLimiterHint : 1
; COMPUTE_PGM_RSRC2:SCRATCH_EN: 0
; COMPUTE_PGM_RSRC2:USER_SGPR: 6
; COMPUTE_PGM_RSRC2:TRAP_HANDLER: 0
; COMPUTE_PGM_RSRC2:TGID_X_EN: 1
; COMPUTE_PGM_RSRC2:TGID_Y_EN: 1
; COMPUTE_PGM_RSRC2:TGID_Z_EN: 1
; COMPUTE_PGM_RSRC2:TIDIG_COMP_CNT: 1
	.section	.text._ZL24rocblas_symm_hemm_kernelILb1ELb1ELi32E19rocblas_complex_numIfEPKPKS1_PKPS1_EvbiiT2_T3_lllSA_lllT4_llli,"axG",@progbits,_ZL24rocblas_symm_hemm_kernelILb1ELb1ELi32E19rocblas_complex_numIfEPKPKS1_PKPS1_EvbiiT2_T3_lllSA_lllT4_llli,comdat
	.globl	_ZL24rocblas_symm_hemm_kernelILb1ELb1ELi32E19rocblas_complex_numIfEPKPKS1_PKPS1_EvbiiT2_T3_lllSA_lllT4_llli ; -- Begin function _ZL24rocblas_symm_hemm_kernelILb1ELb1ELi32E19rocblas_complex_numIfEPKPKS1_PKPS1_EvbiiT2_T3_lllSA_lllT4_llli
	.p2align	8
	.type	_ZL24rocblas_symm_hemm_kernelILb1ELb1ELi32E19rocblas_complex_numIfEPKPKS1_PKPS1_EvbiiT2_T3_lllSA_lllT4_llli,@function
_ZL24rocblas_symm_hemm_kernelILb1ELb1ELi32E19rocblas_complex_numIfEPKPKS1_PKPS1_EvbiiT2_T3_lllSA_lllT4_llli: ; @_ZL24rocblas_symm_hemm_kernelILb1ELb1ELi32E19rocblas_complex_numIfEPKPKS1_PKPS1_EvbiiT2_T3_lllSA_lllT4_llli
; %bb.0:
	s_clause 0x1
	s_load_dwordx4 s[12:15], s[4:5], 0x0
	s_load_dword s20, s[4:5], 0x10
	s_waitcnt lgkmcnt(0)
	v_cmp_eq_f32_e64 s0, s15, 0
	v_cmp_eq_f32_e64 s1, s20, 0
	s_and_b32 s0, s0, s1
	s_and_b32 vcc_lo, exec_lo, s0
	s_cbranch_vccnz .LBB59_21
; %bb.1:
	s_add_i32 s0, s14, -1
	s_ashr_i32 s1, s0, 31
	s_lshr_b32 s1, s1, 27
	s_add_i32 s0, s0, s1
	s_ashr_i32 s21, s0, 5
	s_cmp_gt_i32 s7, s21
	s_cbranch_scc1 .LBB59_21
; %bb.2:
	s_clause 0x1
	s_load_dwordx4 s[24:27], s[4:5], 0x18
	s_load_dwordx2 s[16:17], s[4:5], 0x28
	s_mov_b32 s9, 0
	v_lshl_add_u32 v2, s6, 5, v0
	s_lshl_b64 s[28:29], s[8:9], 3
	s_load_dwordx2 s[18:19], s[4:5], 0x48
	v_lshlrev_b32_e32 v4, 3, v1
	v_lshlrev_b32_e32 v12, 8, v0
	v_ashrrev_i32_e32 v3, 31, v2
	v_lshl_add_u32 v5, s7, 5, v1
	v_or_b32_e32 v13, 0x2000, v4
	v_add_nc_u32_e32 v14, v12, v4
	v_sub_nc_u32_e32 v15, 0, v5
	v_add_nc_u32_e32 v16, v13, v12
	v_add_nc_u32_e32 v17, 0x800, v13
	;; [unrolled: 1-line block ×4, first 2 shown]
	s_waitcnt lgkmcnt(0)
	s_add_u32 s0, s24, s28
	s_addc_u32 s1, s25, s29
	s_lshl_b64 s[24:25], s[26:27], 3
	s_load_dwordx2 s[22:23], s[0:1], 0x0
	s_clause 0x1
	s_load_dwordx4 s[0:3], s[4:5], 0x38
	s_load_dwordx4 s[8:11], s[4:5], 0x58
	s_waitcnt lgkmcnt(0)
	s_add_u32 s22, s22, s24
	s_addc_u32 s23, s23, s25
	s_add_u32 s0, s0, s28
	s_addc_u32 s1, s1, s29
	;; [unrolled: 2-line block ×3, first 2 shown]
	s_bitcmp1_b32 s12, 0
	s_load_dwordx2 s[24:25], s[8:9], 0x0
	s_load_dwordx2 s[8:9], s[4:5], 0x68
	;; [unrolled: 1-line block ×3, first 2 shown]
	s_load_dword s4, s[4:5], 0x84
	v_cmp_gt_i32_e64 s0, s13, v2
	v_lshlrev_b64 v[2:3], 3, v[2:3]
	s_cselect_b32 s1, -1, 0
	s_lshl_b64 s[10:11], s[10:11], 3
	s_waitcnt lgkmcnt(0)
	s_add_u32 s5, s24, s10
	s_addc_u32 s6, s25, s11
	s_lshl_b64 s[2:3], s[2:3], 3
	v_add_co_u32 v19, vcc_lo, s5, v2
	s_add_u32 s2, s26, s2
	v_add_co_ci_u32_e64 v20, null, s6, v3, vcc_lo
	s_addc_u32 s3, s27, s3
	v_add_co_u32 v21, vcc_lo, s2, v2
	v_add_co_ci_u32_e64 v22, null, s3, v3, vcc_lo
	s_cmp_gt_i32 s14, 0
	s_cselect_b32 s3, -1, 0
	s_lshl_b32 s5, s4, 5
	s_branch .LBB59_4
.LBB59_3:                               ;   in Loop: Header=BB59_4 Depth=1
	v_subrev_nc_u32_e32 v15, s5, v15
	s_add_i32 s7, s7, s4
	s_cmp_gt_i32 s7, s21
	s_cbranch_scc1 .LBB59_21
.LBB59_4:                               ; =>This Loop Header: Depth=1
                                        ;     Child Loop BB59_7 Depth 2
	s_andn2_b32 vcc_lo, exec_lo, s3
	s_cbranch_vccnz .LBB59_3
; %bb.5:                                ;   in Loop: Header=BB59_4 Depth=1
	v_lshl_add_u32 v2, s7, 5, v1
	v_add_nc_u32_e32 v28, v0, v15
	s_mov_b32 s10, 0
	v_ashrrev_i32_e32 v3, 31, v2
	v_mul_lo_u32 v8, s17, v2
	v_mad_u64_u32 v[4:5], null, s16, v2, 0
	v_mul_lo_u32 v10, s9, v2
	v_mul_lo_u32 v9, s16, v3
	v_mad_u64_u32 v[6:7], null, s8, v2, 0
	v_mul_lo_u32 v11, s8, v3
	v_cmp_gt_i32_e32 vcc_lo, s14, v2
	v_add3_u32 v5, v5, v9, v8
	v_lshlrev_b64 v[8:9], 3, v[2:3]
	s_and_b32 s6, s0, vcc_lo
	v_add3_u32 v7, v7, v11, v10
	v_lshlrev_b64 v[3:4], 3, v[4:5]
	v_add_co_u32 v24, s2, s22, v8
	v_lshlrev_b64 v[5:6], 3, v[6:7]
	v_add_co_ci_u32_e64 v25, null, s23, v9, s2
	v_add_co_u32 v26, s2, s22, v3
	v_add_co_ci_u32_e64 v27, null, s23, v4, s2
	v_add_co_u32 v3, s2, v19, v5
	;; [unrolled: 2-line block ×3, first 2 shown]
	v_add_co_ci_u32_e64 v6, null, v27, v9, s2
	s_branch .LBB59_7
.LBB59_6:                               ;   in Loop: Header=BB59_7 Depth=2
	s_or_b32 exec_lo, exec_lo, s2
	s_add_i32 s10, s10, 32
	s_waitcnt lgkmcnt(0)
	s_waitcnt_vscnt null, 0x0
	s_cmp_ge_i32 s10, s14
	s_barrier
	buffer_gl0_inv
	s_cbranch_scc1 .LBB59_3
.LBB59_7:                               ;   Parent Loop BB59_4 Depth=1
                                        ; =>  This Inner Loop Header: Depth=2
	v_add_nc_u32_e32 v8, s10, v1
	v_mov_b32_e32 v7, 0
	v_mov_b32_e32 v10, 0
	;; [unrolled: 1-line block ×3, first 2 shown]
	v_cmp_gt_i32_e32 vcc_lo, s14, v8
	s_and_b32 s11, s0, vcc_lo
	s_and_saveexec_b32 s2, s11
	s_cbranch_execz .LBB59_9
; %bb.8:                                ;   in Loop: Header=BB59_7 Depth=2
	v_ashrrev_i32_e32 v10, 31, v8
	v_mul_lo_u32 v11, s19, v8
	v_mad_u64_u32 v[8:9], null, s18, v8, 0
	v_mul_lo_u32 v10, s18, v10
	v_add3_u32 v9, v9, v10, v11
	v_lshlrev_b64 v[8:9], 3, v[8:9]
	v_add_co_u32 v8, vcc_lo, v21, v8
	v_add_co_ci_u32_e64 v9, null, v22, v9, vcc_lo
	flat_load_dwordx2 v[10:11], v[8:9]
.LBB59_9:                               ;   in Loop: Header=BB59_7 Depth=2
	s_or_b32 exec_lo, exec_lo, s2
	v_add_nc_u32_e32 v9, s10, v0
	s_mov_b32 s11, exec_lo
	s_waitcnt vmcnt(0) lgkmcnt(0)
	ds_write_b64 v14, v[10:11]
	v_cndmask_b32_e64 v8, v2, v9, s1
	v_cndmask_b32_e64 v29, v9, v2, s1
	v_cmp_gt_i32_e32 vcc_lo, v8, v29
	v_cndmask_b32_e32 v30, v9, v2, vcc_lo
	v_cndmask_b32_e32 v31, v2, v9, vcc_lo
	v_cmp_le_i32_e32 vcc_lo, v8, v29
	v_mov_b32_e32 v8, 0
	v_max_i32_e32 v30, v30, v31
	v_cmpx_gt_i32_e64 s14, v30
	s_cbranch_execz .LBB59_19
; %bb.10:                               ;   in Loop: Header=BB59_7 Depth=2
                                        ; implicit-def: $vgpr8
	s_and_saveexec_b32 s2, vcc_lo
	s_xor_b32 s2, exec_lo, s2
	s_cbranch_execz .LBB59_16
; %bb.11:                               ;   in Loop: Header=BB59_7 Depth=2
	v_add_nc_u32_e32 v7, s10, v28
	v_cmp_ne_u32_e32 vcc_lo, 0, v7
                                        ; implicit-def: $vgpr8
	s_and_saveexec_b32 s12, vcc_lo
	s_xor_b32 s12, exec_lo, s12
	s_cbranch_execz .LBB59_13
; %bb.12:                               ;   in Loop: Header=BB59_7 Depth=2
	v_ashrrev_i32_e32 v10, 31, v9
	v_lshlrev_b64 v[7:8], 3, v[9:10]
	v_add_co_u32 v7, vcc_lo, v26, v7
	v_add_co_ci_u32_e64 v8, null, v27, v8, vcc_lo
	flat_load_dwordx2 v[7:8], v[7:8]
.LBB59_13:                              ;   in Loop: Header=BB59_7 Depth=2
	s_andn2_saveexec_b32 s12, s12
	s_cbranch_execz .LBB59_15
; %bb.14:                               ;   in Loop: Header=BB59_7 Depth=2
	s_waitcnt vmcnt(0) lgkmcnt(0)
	flat_load_dword v7, v[5:6]
	v_mov_b32_e32 v8, 0
.LBB59_15:                              ;   in Loop: Header=BB59_7 Depth=2
	s_or_b32 exec_lo, exec_lo, s12
                                        ; implicit-def: $vgpr9
.LBB59_16:                              ;   in Loop: Header=BB59_7 Depth=2
	s_andn2_saveexec_b32 s2, s2
	s_cbranch_execz .LBB59_18
; %bb.17:                               ;   in Loop: Header=BB59_7 Depth=2
	v_ashrrev_i32_e32 v10, 31, v9
	v_mul_lo_u32 v11, s17, v9
	s_waitcnt vmcnt(0) lgkmcnt(0)
	v_mad_u64_u32 v[7:8], null, s16, v9, 0
	v_mul_lo_u32 v9, s16, v10
	v_add3_u32 v8, v8, v9, v11
	v_lshlrev_b64 v[7:8], 3, v[7:8]
	v_add_co_u32 v7, vcc_lo, v24, v7
	v_add_co_ci_u32_e64 v8, null, v25, v8, vcc_lo
	flat_load_dwordx2 v[7:8], v[7:8]
	s_waitcnt vmcnt(0) lgkmcnt(0)
	v_xor_b32_e32 v8, 0x80000000, v8
.LBB59_18:                              ;   in Loop: Header=BB59_7 Depth=2
	s_or_b32 exec_lo, exec_lo, s2
.LBB59_19:                              ;   in Loop: Header=BB59_7 Depth=2
	s_or_b32 exec_lo, exec_lo, s11
	s_waitcnt vmcnt(0) lgkmcnt(0)
	ds_write_b64 v16, v[7:8]
	s_waitcnt lgkmcnt(0)
	s_barrier
	buffer_gl0_inv
	s_and_saveexec_b32 s2, s6
	s_cbranch_execz .LBB59_6
; %bb.20:                               ;   in Loop: Header=BB59_7 Depth=2
	flat_load_dwordx2 v[7:8], v[3:4]
	ds_read2_b64 v[29:32], v13 offset1:32
	ds_read_b128 v[33:36], v12
	ds_read_b128 v[37:40], v12 offset:16
	ds_read2_b64 v[41:44], v13 offset0:64 offset1:96
	ds_read2_b64 v[45:48], v13 offset0:128 offset1:160
	ds_read_b128 v[49:52], v12 offset:32
	ds_read_b128 v[53:56], v12 offset:48
	ds_read2_b64 v[57:60], v13 offset0:192 offset1:224
	ds_read2_b64 v[61:64], v17 offset1:32
	ds_read_b128 v[65:68], v12 offset:64
	ds_read_b128 v[69:72], v12 offset:80
	ds_read2_b64 v[73:76], v17 offset0:64 offset1:96
	ds_read2_b64 v[77:80], v17 offset0:128 offset1:160
	ds_read_b128 v[81:84], v12 offset:96
	ds_read_b128 v[85:88], v12 offset:112
	s_waitcnt lgkmcnt(13)
	v_mul_f32_e32 v9, v30, v34
	v_mul_f32_e32 v10, v29, v34
	;; [unrolled: 1-line block ×4, first 2 shown]
	s_waitcnt lgkmcnt(11)
	v_mul_f32_e32 v90, v41, v38
	v_fma_f32 v9, v29, v33, -v9
	v_fmac_f32_e32 v10, v30, v33
	v_fma_f32 v11, v31, v35, -v11
	v_fmac_f32_e32 v89, v32, v35
	v_mul_f32_e32 v33, v42, v38
	v_add_f32_e32 v9, 0, v9
	v_add_f32_e32 v10, 0, v10
	v_mul_f32_e32 v34, v44, v40
	v_mul_f32_e32 v91, v43, v40
	v_fma_f32 v93, v41, v37, -v33
	v_fmac_f32_e32 v90, v42, v37
	v_add_f32_e32 v10, v10, v89
	v_add_f32_e32 v9, v9, v11
	s_waitcnt lgkmcnt(9)
	v_mul_f32_e32 v38, v46, v50
	v_mul_f32_e32 v92, v45, v50
	v_fma_f32 v94, v43, v39, -v34
	v_fmac_f32_e32 v91, v44, v39
	v_add_f32_e32 v10, v10, v90
	v_add_f32_e32 v9, v9, v93
	v_mul_f32_e32 v40, v48, v52
	v_mul_f32_e32 v95, v47, v52
	v_fma_f32 v96, v45, v49, -v38
	v_fmac_f32_e32 v92, v46, v49
	v_add_f32_e32 v10, v10, v91
	v_add_f32_e32 v9, v9, v94
	v_fma_f32 v97, v47, v51, -v40
	v_fmac_f32_e32 v95, v48, v51
	s_waitcnt lgkmcnt(7)
	v_mul_f32_e32 v45, v58, v54
	v_mul_f32_e32 v98, v57, v54
	v_add_f32_e32 v10, v10, v92
	v_add_f32_e32 v9, v9, v96
	v_mul_f32_e32 v46, v60, v56
	v_mul_f32_e32 v89, v59, v56
	v_fma_f32 v99, v57, v53, -v45
	v_fmac_f32_e32 v98, v58, v53
	v_add_f32_e32 v10, v10, v95
	v_add_f32_e32 v9, v9, v97
	v_fma_f32 v100, v59, v55, -v46
	v_fmac_f32_e32 v89, v60, v55
	s_waitcnt lgkmcnt(5)
	v_mul_f32_e32 v11, v62, v66
	v_mul_f32_e32 v90, v61, v66
	v_add_f32_e32 v10, v10, v98
	v_add_f32_e32 v9, v9, v99
	v_mul_f32_e32 v53, v64, v68
	v_mul_f32_e32 v91, v63, v68
	v_fma_f32 v11, v61, v65, -v11
	v_fmac_f32_e32 v90, v62, v65
	v_add_f32_e32 v10, v10, v89
	v_add_f32_e32 v9, v9, v100
	ds_read2_b64 v[29:32], v17 offset0:192 offset1:224
	s_waitcnt lgkmcnt(4)
	v_mul_f32_e32 v66, v74, v70
	v_mul_f32_e32 v92, v73, v70
	v_fma_f32 v93, v63, v67, -v53
	v_fmac_f32_e32 v91, v64, v67
	v_add_f32_e32 v10, v10, v90
	v_add_f32_e32 v9, v9, v11
	v_mul_f32_e32 v61, v76, v72
	v_mul_f32_e32 v94, v75, v72
	v_fma_f32 v95, v73, v69, -v66
	v_fmac_f32_e32 v92, v74, v69
	v_add_f32_e32 v10, v10, v91
	v_add_f32_e32 v9, v9, v93
	ds_read2_b64 v[33:36], v18 offset1:32
	v_fma_f32 v96, v75, v71, -v61
	v_fmac_f32_e32 v94, v76, v71
	s_waitcnt lgkmcnt(3)
	v_mul_f32_e32 v69, v78, v82
	v_mul_f32_e32 v82, v77, v82
	v_add_f32_e32 v10, v10, v92
	v_add_f32_e32 v9, v9, v95
	ds_read_b128 v[37:40], v12 offset:128
	ds_read_b128 v[41:44], v12 offset:144
	v_mul_f32_e32 v70, v80, v84
	v_mul_f32_e32 v84, v79, v84
	v_fma_f32 v90, v77, v81, -v69
	v_fmac_f32_e32 v82, v78, v81
	v_add_f32_e32 v10, v10, v94
	v_add_f32_e32 v9, v9, v96
	ds_read2_b64 v[45:48], v18 offset0:64 offset1:96
	s_waitcnt lgkmcnt(4)
	v_mul_f32_e32 v89, v30, v86
	v_mul_f32_e32 v86, v29, v86
	v_fma_f32 v81, v79, v83, -v70
	v_fmac_f32_e32 v84, v80, v83
	v_add_f32_e32 v10, v10, v82
	v_add_f32_e32 v9, v9, v90
	v_mul_f32_e32 v77, v32, v88
	v_mul_f32_e32 v83, v31, v88
	v_fma_f32 v11, v29, v85, -v89
	v_fmac_f32_e32 v86, v30, v85
	v_add_f32_e32 v10, v10, v84
	v_add_f32_e32 v9, v9, v81
	ds_read2_b64 v[49:52], v18 offset0:128 offset1:160
	v_fma_f32 v85, v31, v87, -v77
	v_fmac_f32_e32 v83, v32, v87
	s_waitcnt lgkmcnt(3)
	v_mul_f32_e32 v87, v34, v38
	v_mul_f32_e32 v88, v33, v38
	v_add_f32_e32 v10, v10, v86
	v_add_f32_e32 v9, v9, v11
	ds_read_b128 v[53:56], v12 offset:160
	ds_read_b128 v[57:60], v12 offset:176
	v_mul_f32_e32 v38, v36, v40
	v_mul_f32_e32 v89, v35, v40
	v_fma_f32 v87, v33, v37, -v87
	v_fmac_f32_e32 v88, v34, v37
	v_add_f32_e32 v10, v10, v83
	v_add_f32_e32 v9, v9, v85
	ds_read2_b64 v[61:64], v18 offset0:192 offset1:224
	v_fma_f32 v91, v35, v39, -v38
	v_fmac_f32_e32 v89, v36, v39
	s_waitcnt lgkmcnt(4)
	v_mul_f32_e32 v82, v46, v42
	v_mul_f32_e32 v92, v45, v42
	v_add_f32_e32 v10, v10, v88
	v_add_f32_e32 v9, v9, v87
	v_mul_f32_e32 v42, v48, v44
	v_mul_f32_e32 v84, v47, v44
	v_fma_f32 v45, v45, v41, -v82
	v_fmac_f32_e32 v92, v46, v41
	v_add_f32_e32 v10, v10, v89
	v_add_f32_e32 v9, v9, v91
	ds_read2_b64 v[65:68], v23 offset1:32
	v_fma_f32 v46, v47, v43, -v42
	v_fmac_f32_e32 v84, v48, v43
	s_waitcnt lgkmcnt(3)
	v_mul_f32_e32 v47, v50, v54
	v_mul_f32_e32 v11, v49, v54
	v_add_f32_e32 v10, v10, v92
	v_add_f32_e32 v9, v9, v45
	ds_read_b128 v[69:72], v12 offset:192
	ds_read_b128 v[73:76], v12 offset:208
	v_mul_f32_e32 v48, v52, v56
	v_mul_f32_e32 v54, v51, v56
	v_fma_f32 v47, v49, v53, -v47
	v_fmac_f32_e32 v11, v50, v53
	v_add_f32_e32 v10, v10, v84
	v_add_f32_e32 v9, v9, v46
	ds_read2_b64 v[29:32], v23 offset0:64 offset1:96
	s_waitcnt lgkmcnt(4)
	v_mul_f32_e32 v56, v62, v58
	v_mul_f32_e32 v58, v61, v58
	v_fma_f32 v48, v51, v55, -v48
	v_fmac_f32_e32 v54, v52, v55
	v_add_f32_e32 v10, v10, v11
	v_add_f32_e32 v9, v9, v47
	v_mul_f32_e32 v81, v64, v60
	v_mul_f32_e32 v60, v63, v60
	v_fma_f32 v47, v61, v57, -v56
	v_fmac_f32_e32 v58, v62, v57
	v_add_f32_e32 v10, v10, v54
	v_add_f32_e32 v9, v9, v48
	ds_read2_b64 v[77:80], v23 offset0:128 offset1:160
	s_waitcnt lgkmcnt(3)
	v_mul_f32_e32 v82, v66, v70
	v_mul_f32_e32 v70, v65, v70
	v_fma_f32 v49, v63, v59, -v81
	v_fmac_f32_e32 v60, v64, v59
	v_add_f32_e32 v10, v10, v58
	v_add_f32_e32 v9, v9, v47
	ds_read_b128 v[33:36], v12 offset:224
	ds_read_b128 v[37:40], v12 offset:240
	v_mul_f32_e32 v83, v68, v72
	v_mul_f32_e32 v72, v67, v72
	v_fmac_f32_e32 v70, v66, v69
	v_fma_f32 v47, v65, v69, -v82
	v_add_f32_e32 v10, v10, v60
	v_add_f32_e32 v9, v9, v49
	ds_read2_b64 v[41:44], v23 offset0:192 offset1:224
	s_waitcnt lgkmcnt(4)
	v_mul_f32_e32 v85, v30, v74
	v_mul_f32_e32 v45, v29, v74
	v_fma_f32 v50, v67, v71, -v83
	v_fmac_f32_e32 v72, v68, v71
	v_add_f32_e32 v10, v10, v70
	v_add_f32_e32 v9, v9, v47
	v_mul_f32_e32 v46, v32, v76
	v_mul_f32_e32 v11, v31, v76
	v_fma_f32 v29, v29, v73, -v85
	v_fmac_f32_e32 v45, v30, v73
	v_add_f32_e32 v10, v10, v72
	v_add_f32_e32 v9, v9, v50
	s_waitcnt lgkmcnt(2)
	v_mul_f32_e32 v48, v78, v34
	v_mul_f32_e32 v34, v77, v34
	v_fma_f32 v31, v31, v75, -v46
	v_fmac_f32_e32 v11, v32, v75
	v_add_f32_e32 v10, v10, v45
	v_add_f32_e32 v9, v9, v29
	v_mul_f32_e32 v49, v80, v36
	v_mul_f32_e32 v36, v79, v36
	v_fma_f32 v32, v77, v33, -v48
	v_fmac_f32_e32 v34, v78, v33
	v_add_f32_e32 v10, v10, v11
	v_add_f32_e32 v9, v9, v31
	;; [unrolled: 13-line block ×3, first 2 shown]
	v_fma_f32 v11, v43, v39, -v11
	v_fmac_f32_e32 v32, v44, v39
	v_add_f32_e32 v10, v10, v29
	v_add_f32_e32 v9, v9, v30
	;; [unrolled: 1-line block ×4, first 2 shown]
	v_mul_f32_e32 v11, s20, v10
	v_mul_f32_e32 v29, s20, v9
	v_fma_f32 v9, s15, v9, -v11
	v_fmac_f32_e32 v29, s15, v10
	s_waitcnt vmcnt(0)
	v_add_f32_e32 v7, v7, v9
	v_add_f32_e32 v8, v8, v29
	flat_store_dwordx2 v[3:4], v[7:8]
	s_branch .LBB59_6
.LBB59_21:
	s_endpgm
	.section	.rodata,"a",@progbits
	.p2align	6, 0x0
	.amdhsa_kernel _ZL24rocblas_symm_hemm_kernelILb1ELb1ELi32E19rocblas_complex_numIfEPKPKS1_PKPS1_EvbiiT2_T3_lllSA_lllT4_llli
		.amdhsa_group_segment_fixed_size 16384
		.amdhsa_private_segment_fixed_size 0
		.amdhsa_kernarg_size 384
		.amdhsa_user_sgpr_count 6
		.amdhsa_user_sgpr_private_segment_buffer 1
		.amdhsa_user_sgpr_dispatch_ptr 0
		.amdhsa_user_sgpr_queue_ptr 0
		.amdhsa_user_sgpr_kernarg_segment_ptr 1
		.amdhsa_user_sgpr_dispatch_id 0
		.amdhsa_user_sgpr_flat_scratch_init 0
		.amdhsa_user_sgpr_private_segment_size 0
		.amdhsa_wavefront_size32 1
		.amdhsa_uses_dynamic_stack 0
		.amdhsa_system_sgpr_private_segment_wavefront_offset 0
		.amdhsa_system_sgpr_workgroup_id_x 1
		.amdhsa_system_sgpr_workgroup_id_y 1
		.amdhsa_system_sgpr_workgroup_id_z 1
		.amdhsa_system_sgpr_workgroup_info 0
		.amdhsa_system_vgpr_workitem_id 1
		.amdhsa_next_free_vgpr 101
		.amdhsa_next_free_sgpr 30
		.amdhsa_reserve_vcc 1
		.amdhsa_reserve_flat_scratch 0
		.amdhsa_float_round_mode_32 0
		.amdhsa_float_round_mode_16_64 0
		.amdhsa_float_denorm_mode_32 3
		.amdhsa_float_denorm_mode_16_64 3
		.amdhsa_dx10_clamp 1
		.amdhsa_ieee_mode 1
		.amdhsa_fp16_overflow 0
		.amdhsa_workgroup_processor_mode 1
		.amdhsa_memory_ordered 1
		.amdhsa_forward_progress 1
		.amdhsa_shared_vgpr_count 0
		.amdhsa_exception_fp_ieee_invalid_op 0
		.amdhsa_exception_fp_denorm_src 0
		.amdhsa_exception_fp_ieee_div_zero 0
		.amdhsa_exception_fp_ieee_overflow 0
		.amdhsa_exception_fp_ieee_underflow 0
		.amdhsa_exception_fp_ieee_inexact 0
		.amdhsa_exception_int_div_zero 0
	.end_amdhsa_kernel
	.section	.text._ZL24rocblas_symm_hemm_kernelILb1ELb1ELi32E19rocblas_complex_numIfEPKPKS1_PKPS1_EvbiiT2_T3_lllSA_lllT4_llli,"axG",@progbits,_ZL24rocblas_symm_hemm_kernelILb1ELb1ELi32E19rocblas_complex_numIfEPKPKS1_PKPS1_EvbiiT2_T3_lllSA_lllT4_llli,comdat
.Lfunc_end59:
	.size	_ZL24rocblas_symm_hemm_kernelILb1ELb1ELi32E19rocblas_complex_numIfEPKPKS1_PKPS1_EvbiiT2_T3_lllSA_lllT4_llli, .Lfunc_end59-_ZL24rocblas_symm_hemm_kernelILb1ELb1ELi32E19rocblas_complex_numIfEPKPKS1_PKPS1_EvbiiT2_T3_lllSA_lllT4_llli
                                        ; -- End function
	.set _ZL24rocblas_symm_hemm_kernelILb1ELb1ELi32E19rocblas_complex_numIfEPKPKS1_PKPS1_EvbiiT2_T3_lllSA_lllT4_llli.num_vgpr, 101
	.set _ZL24rocblas_symm_hemm_kernelILb1ELb1ELi32E19rocblas_complex_numIfEPKPKS1_PKPS1_EvbiiT2_T3_lllSA_lllT4_llli.num_agpr, 0
	.set _ZL24rocblas_symm_hemm_kernelILb1ELb1ELi32E19rocblas_complex_numIfEPKPKS1_PKPS1_EvbiiT2_T3_lllSA_lllT4_llli.numbered_sgpr, 30
	.set _ZL24rocblas_symm_hemm_kernelILb1ELb1ELi32E19rocblas_complex_numIfEPKPKS1_PKPS1_EvbiiT2_T3_lllSA_lllT4_llli.num_named_barrier, 0
	.set _ZL24rocblas_symm_hemm_kernelILb1ELb1ELi32E19rocblas_complex_numIfEPKPKS1_PKPS1_EvbiiT2_T3_lllSA_lllT4_llli.private_seg_size, 0
	.set _ZL24rocblas_symm_hemm_kernelILb1ELb1ELi32E19rocblas_complex_numIfEPKPKS1_PKPS1_EvbiiT2_T3_lllSA_lllT4_llli.uses_vcc, 1
	.set _ZL24rocblas_symm_hemm_kernelILb1ELb1ELi32E19rocblas_complex_numIfEPKPKS1_PKPS1_EvbiiT2_T3_lllSA_lllT4_llli.uses_flat_scratch, 0
	.set _ZL24rocblas_symm_hemm_kernelILb1ELb1ELi32E19rocblas_complex_numIfEPKPKS1_PKPS1_EvbiiT2_T3_lllSA_lllT4_llli.has_dyn_sized_stack, 0
	.set _ZL24rocblas_symm_hemm_kernelILb1ELb1ELi32E19rocblas_complex_numIfEPKPKS1_PKPS1_EvbiiT2_T3_lllSA_lllT4_llli.has_recursion, 0
	.set _ZL24rocblas_symm_hemm_kernelILb1ELb1ELi32E19rocblas_complex_numIfEPKPKS1_PKPS1_EvbiiT2_T3_lllSA_lllT4_llli.has_indirect_call, 0
	.section	.AMDGPU.csdata,"",@progbits
; Kernel info:
; codeLenInByte = 2316
; TotalNumSgprs: 32
; NumVgprs: 101
; ScratchSize: 0
; MemoryBound: 0
; FloatMode: 240
; IeeeMode: 1
; LDSByteSize: 16384 bytes/workgroup (compile time only)
; SGPRBlocks: 0
; VGPRBlocks: 12
; NumSGPRsForWavesPerEU: 32
; NumVGPRsForWavesPerEU: 101
; Occupancy: 9
; WaveLimiterHint : 1
; COMPUTE_PGM_RSRC2:SCRATCH_EN: 0
; COMPUTE_PGM_RSRC2:USER_SGPR: 6
; COMPUTE_PGM_RSRC2:TRAP_HANDLER: 0
; COMPUTE_PGM_RSRC2:TGID_X_EN: 1
; COMPUTE_PGM_RSRC2:TGID_Y_EN: 1
; COMPUTE_PGM_RSRC2:TGID_Z_EN: 1
; COMPUTE_PGM_RSRC2:TIDIG_COMP_CNT: 1
	.section	.text._ZL24rocblas_symm_hemm_kernelILb1ELb0ELi32EPK19rocblas_complex_numIdEPKS3_PKPS1_EvbiiT2_T3_lllSA_lllT4_llli,"axG",@progbits,_ZL24rocblas_symm_hemm_kernelILb1ELb0ELi32EPK19rocblas_complex_numIdEPKS3_PKPS1_EvbiiT2_T3_lllSA_lllT4_llli,comdat
	.globl	_ZL24rocblas_symm_hemm_kernelILb1ELb0ELi32EPK19rocblas_complex_numIdEPKS3_PKPS1_EvbiiT2_T3_lllSA_lllT4_llli ; -- Begin function _ZL24rocblas_symm_hemm_kernelILb1ELb0ELi32EPK19rocblas_complex_numIdEPKS3_PKPS1_EvbiiT2_T3_lllSA_lllT4_llli
	.p2align	8
	.type	_ZL24rocblas_symm_hemm_kernelILb1ELb0ELi32EPK19rocblas_complex_numIdEPKS3_PKPS1_EvbiiT2_T3_lllSA_lllT4_llli,@function
_ZL24rocblas_symm_hemm_kernelILb1ELb0ELi32EPK19rocblas_complex_numIdEPKS3_PKPS1_EvbiiT2_T3_lllSA_lllT4_llli: ; @_ZL24rocblas_symm_hemm_kernelILb1ELb0ELi32EPK19rocblas_complex_numIdEPKS3_PKPS1_EvbiiT2_T3_lllSA_lllT4_llli
; %bb.0:
	s_load_dwordx8 s[12:19], s[4:5], 0x10
	s_waitcnt lgkmcnt(0)
	s_load_dwordx4 s[20:23], s[12:13], 0x0
	s_waitcnt lgkmcnt(0)
	v_cmp_eq_f64_e64 s0, s[20:21], 0
	v_cmp_eq_f64_e64 s1, s[22:23], 0
	s_and_b32 s0, s0, s1
	s_and_b32 vcc_lo, exec_lo, s0
	s_cbranch_vccnz .LBB60_23
; %bb.1:
	s_load_dwordx4 s[24:27], s[4:5], 0x0
	s_waitcnt lgkmcnt(0)
	s_add_i32 s0, s26, -1
	s_ashr_i32 s1, s0, 31
	s_lshr_b32 s1, s1, 27
	s_add_i32 s0, s0, s1
	s_ashr_i32 s12, s0, 5
	s_cmp_gt_i32 s7, s12
	s_cbranch_scc1 .LBB60_23
; %bb.2:
	s_load_dwordx4 s[28:31], s[4:5], 0x38
	s_mov_b32 s9, 0
	v_lshl_add_u32 v10, s6, 5, v0
	s_lshl_b64 s[34:35], s[8:9], 3
	s_load_dwordx2 s[8:9], s[4:5], 0x48
	s_add_u32 s14, s14, s34
	s_addc_u32 s15, s15, s35
	v_ashrrev_i32_e32 v11, 31, v10
	v_mul_lo_u32 v6, s19, v10
	v_mad_u64_u32 v[2:3], null, s18, v10, 0
	v_lshlrev_b32_e32 v17, 9, v0
	v_mul_lo_u32 v7, s18, v11
	v_lshlrev_b32_e32 v4, 4, v1
	v_add_nc_u32_e32 v18, v17, v4
	v_or_b32_e32 v19, 0x4000, v4
	s_waitcnt lgkmcnt(0)
	s_add_u32 s0, s28, s34
	s_addc_u32 s1, s29, s35
	s_lshl_b64 s[30:31], s[30:31], 4
	s_load_dwordx2 s[28:29], s[0:1], 0x0
	s_clause 0x1
	s_load_dwordx4 s[0:3], s[4:5], 0x58
	s_load_dwordx2 s[10:11], s[4:5], 0x68
	s_load_dwordx2 s[14:15], s[14:15], 0x0
	s_load_dword s4, s[4:5], 0x84
	v_lshlrev_b64 v[4:5], 4, v[10:11]
	v_add3_u32 v3, v3, v7, v6
	v_add_nc_u32_e32 v20, v19, v17
	v_lshlrev_b64 v[2:3], 4, v[2:3]
	s_waitcnt lgkmcnt(0)
	s_add_u32 s6, s28, s30
	s_addc_u32 s13, s29, s31
	s_add_u32 s0, s0, s34
	s_addc_u32 s1, s1, s35
	s_bitcmp1_b32 s24, 0
	s_load_dwordx2 s[28:29], s[0:1], 0x0
	s_cselect_b32 s1, -1, 0
	s_lshl_b64 s[2:3], s[2:3], 4
	v_cmp_gt_i32_e64 s0, s25, v10
	s_waitcnt lgkmcnt(0)
	s_add_u32 s5, s28, s2
	s_addc_u32 s24, s29, s3
	s_lshl_b64 s[2:3], s[16:17], 4
	v_add_co_u32 v21, vcc_lo, s5, v4
	s_add_u32 s2, s14, s2
	v_add_co_ci_u32_e64 v22, null, s24, v5, vcc_lo
	s_addc_u32 s3, s15, s3
	v_add_co_u32 v23, vcc_lo, s2, v4
	v_add_co_ci_u32_e64 v24, null, s3, v5, vcc_lo
	v_add_co_u32 v25, vcc_lo, s2, v2
	v_add_co_ci_u32_e64 v26, null, s3, v3, vcc_lo
	v_add_co_u32 v11, vcc_lo, v23, v2
	v_add_co_ci_u32_e64 v12, null, v24, v3, vcc_lo
	s_cmp_gt_i32 s25, 0
	s_cselect_b32 s5, -1, 0
	s_branch .LBB60_4
.LBB60_3:                               ;   in Loop: Header=BB60_4 Depth=1
	s_add_i32 s7, s7, s4
	s_cmp_gt_i32 s7, s12
	s_cbranch_scc1 .LBB60_23
.LBB60_4:                               ; =>This Loop Header: Depth=1
                                        ;     Child Loop BB60_7 Depth 2
                                        ;       Child Loop BB60_21 Depth 3
	s_andn2_b32 vcc_lo, exec_lo, s5
	s_cbranch_vccnz .LBB60_3
; %bb.5:                                ;   in Loop: Header=BB60_4 Depth=1
	v_lshl_add_u32 v6, s7, 5, v1
	s_mov_b32 s15, 0
	v_ashrrev_i32_e32 v7, 31, v6
	v_mul_lo_u32 v8, s9, v6
	v_mad_u64_u32 v[2:3], null, s8, v6, 0
	v_mul_lo_u32 v13, s11, v6
	v_mul_lo_u32 v9, s8, v7
	v_mad_u64_u32 v[4:5], null, s10, v6, 0
	v_mul_lo_u32 v7, s10, v7
	v_cmp_gt_i32_e32 vcc_lo, s26, v6
	v_add3_u32 v3, v3, v9, v8
	s_and_b32 s14, s0, vcc_lo
	v_add3_u32 v5, v5, v7, v13
	v_lshlrev_b64 v[2:3], 4, v[2:3]
	v_lshlrev_b64 v[4:5], 4, v[4:5]
	v_add_co_u32 v27, s2, s6, v2
	v_add_co_ci_u32_e64 v28, null, s13, v3, s2
	v_add_co_u32 v13, s2, v21, v4
	v_add_co_ci_u32_e64 v14, null, v22, v5, s2
	s_branch .LBB60_7
.LBB60_6:                               ;   in Loop: Header=BB60_7 Depth=2
	s_or_b32 exec_lo, exec_lo, s2
	s_add_i32 s15, s15, 32
	s_waitcnt lgkmcnt(0)
	s_waitcnt_vscnt null, 0x0
	s_cmp_ge_i32 s15, s25
	s_barrier
	buffer_gl0_inv
	s_cbranch_scc1 .LBB60_3
.LBB60_7:                               ;   Parent Loop BB60_4 Depth=1
                                        ; =>  This Loop Header: Depth=2
                                        ;       Child Loop BB60_21 Depth 3
	v_add_nc_u32_e32 v4, s15, v1
	v_mov_b32_e32 v8, 0
	v_mov_b32_e32 v9, 0
	s_mov_b32 s16, exec_lo
	v_cndmask_b32_e64 v2, v4, v10, s1
	v_cndmask_b32_e64 v3, v10, v4, s1
	v_cmp_gt_i32_e64 s2, v2, v3
	v_cndmask_b32_e64 v5, v10, v4, s2
	v_cndmask_b32_e64 v6, v4, v10, s2
	v_cmp_le_i32_e64 s2, v2, v3
	v_mov_b32_e32 v2, 0
	v_mov_b32_e32 v3, 0
	v_max_i32_e32 v5, v5, v6
	v_mov_b32_e32 v6, 0
	v_mov_b32_e32 v7, 0
	v_cmpx_gt_i32_e64 s25, v5
	s_cbranch_execz .LBB60_17
; %bb.8:                                ;   in Loop: Header=BB60_7 Depth=2
                                        ; implicit-def: $vgpr8_vgpr9
	s_and_saveexec_b32 s3, s2
	s_xor_b32 s3, exec_lo, s3
	s_cbranch_execz .LBB60_14
; %bb.9:                                ;   in Loop: Header=BB60_7 Depth=2
	s_mov_b32 s17, exec_lo
                                        ; implicit-def: $vgpr8_vgpr9
	v_cmpx_ne_u32_e64 v10, v4
	s_xor_b32 s17, exec_lo, s17
	s_cbranch_execz .LBB60_11
; %bb.10:                               ;   in Loop: Header=BB60_7 Depth=2
	v_ashrrev_i32_e32 v6, 31, v4
	v_mul_lo_u32 v7, s19, v4
	v_mad_u64_u32 v[4:5], null, s18, v4, 0
	v_mul_lo_u32 v6, s18, v6
	v_add3_u32 v5, v5, v6, v7
	v_lshlrev_b64 v[4:5], 4, v[4:5]
	v_add_co_u32 v4, s2, v23, v4
	v_add_co_ci_u32_e64 v5, null, v24, v5, s2
	flat_load_dwordx4 v[6:9], v[4:5]
.LBB60_11:                              ;   in Loop: Header=BB60_7 Depth=2
	s_andn2_saveexec_b32 s2, s17
	s_cbranch_execz .LBB60_13
; %bb.12:                               ;   in Loop: Header=BB60_7 Depth=2
	s_waitcnt vmcnt(0) lgkmcnt(0)
	flat_load_dwordx2 v[6:7], v[11:12]
	v_mov_b32_e32 v8, 0
	v_mov_b32_e32 v9, 0
.LBB60_13:                              ;   in Loop: Header=BB60_7 Depth=2
	s_or_b32 exec_lo, exec_lo, s2
                                        ; implicit-def: $vgpr4
.LBB60_14:                              ;   in Loop: Header=BB60_7 Depth=2
	s_andn2_saveexec_b32 s3, s3
	s_cbranch_execz .LBB60_16
; %bb.15:                               ;   in Loop: Header=BB60_7 Depth=2
	v_ashrrev_i32_e32 v5, 31, v4
	v_lshlrev_b64 v[4:5], 4, v[4:5]
	v_add_co_u32 v4, s2, v25, v4
	v_add_co_ci_u32_e64 v5, null, v26, v5, s2
	s_waitcnt vmcnt(0) lgkmcnt(0)
	flat_load_dwordx4 v[6:9], v[4:5]
	s_waitcnt vmcnt(0) lgkmcnt(0)
	v_xor_b32_e32 v9, 0x80000000, v9
.LBB60_16:                              ;   in Loop: Header=BB60_7 Depth=2
	s_or_b32 exec_lo, exec_lo, s3
.LBB60_17:                              ;   in Loop: Header=BB60_7 Depth=2
	s_or_b32 exec_lo, exec_lo, s16
	v_add_nc_u32_e32 v15, s15, v0
	v_mov_b32_e32 v4, 0
	v_mov_b32_e32 v5, 0
	s_waitcnt vmcnt(0) lgkmcnt(0)
	ds_write_b128 v18, v[6:9]
	v_cmp_gt_i32_e64 s2, s25, v15
	s_and_b32 s2, s2, vcc_lo
	s_and_saveexec_b32 s3, s2
	s_cbranch_execz .LBB60_19
; %bb.18:                               ;   in Loop: Header=BB60_7 Depth=2
	v_ashrrev_i32_e32 v16, 31, v15
	v_lshlrev_b64 v[2:3], 4, v[15:16]
	v_add_co_u32 v2, s2, v27, v2
	v_add_co_ci_u32_e64 v3, null, v28, v3, s2
	flat_load_dwordx4 v[2:5], v[2:3]
.LBB60_19:                              ;   in Loop: Header=BB60_7 Depth=2
	s_or_b32 exec_lo, exec_lo, s3
	s_waitcnt vmcnt(0) lgkmcnt(0)
	ds_write_b128 v20, v[2:5]
	s_waitcnt lgkmcnt(0)
	s_barrier
	buffer_gl0_inv
	s_and_saveexec_b32 s2, s14
	s_cbranch_execz .LBB60_6
; %bb.20:                               ;   in Loop: Header=BB60_7 Depth=2
	v_mov_b32_e32 v2, 0
	v_mov_b32_e32 v4, 0
	;; [unrolled: 1-line block ×5, first 2 shown]
	s_mov_b32 s3, 0
.LBB60_21:                              ;   Parent Loop BB60_4 Depth=1
                                        ;     Parent Loop BB60_7 Depth=2
                                        ; =>    This Inner Loop Header: Depth=3
	v_add_nc_u32_e32 v9, s3, v17
	s_addk_i32 s3, 0x80
	ds_read_b128 v[29:32], v6
	ds_read_b128 v[33:36], v9
	ds_read_b128 v[37:40], v6 offset:512
	ds_read_b128 v[41:44], v9 offset:16
	;; [unrolled: 1-line block ×3, first 2 shown]
	s_cmpk_eq_i32 s3, 0x200
	s_waitcnt lgkmcnt(3)
	v_mul_f64 v[7:8], v[31:32], v[35:36]
	v_mul_f64 v[15:16], v[29:30], v[35:36]
	s_waitcnt lgkmcnt(1)
	v_mul_f64 v[53:54], v[39:40], v[43:44]
	v_mul_f64 v[43:44], v[37:38], v[43:44]
	v_fma_f64 v[7:8], v[29:30], v[33:34], -v[7:8]
	v_fma_f64 v[15:16], v[31:32], v[33:34], v[15:16]
	ds_read_b128 v[29:32], v9 offset:32
	ds_read_b128 v[33:36], v6 offset:1536
	;; [unrolled: 1-line block ×3, first 2 shown]
	v_fma_f64 v[37:38], v[37:38], v[41:42], -v[53:54]
	v_fma_f64 v[39:40], v[39:40], v[41:42], v[43:44]
	s_waitcnt lgkmcnt(2)
	v_mul_f64 v[55:56], v[47:48], v[31:32]
	v_mul_f64 v[31:32], v[45:46], v[31:32]
	v_add_f64 v[7:8], v[2:3], v[7:8]
	v_add_f64 v[15:16], v[4:5], v[15:16]
	s_waitcnt lgkmcnt(0)
	v_mul_f64 v[53:54], v[35:36], v[51:52]
	v_mul_f64 v[51:52], v[33:34], v[51:52]
	ds_read_b128 v[2:5], v6 offset:2048
	v_fma_f64 v[45:46], v[45:46], v[29:30], -v[55:56]
	v_fma_f64 v[47:48], v[47:48], v[29:30], v[31:32]
	v_add_f64 v[7:8], v[7:8], v[37:38]
	v_add_f64 v[15:16], v[15:16], v[39:40]
	ds_read_b128 v[29:32], v9 offset:64
	ds_read_b128 v[37:40], v6 offset:2560
	;; [unrolled: 1-line block ×3, first 2 shown]
	v_fma_f64 v[53:54], v[33:34], v[49:50], -v[53:54]
	v_fma_f64 v[35:36], v[35:36], v[49:50], v[51:52]
	s_waitcnt lgkmcnt(2)
	v_mul_f64 v[55:56], v[4:5], v[31:32]
	v_mul_f64 v[57:58], v[2:3], v[31:32]
	v_add_f64 v[7:8], v[7:8], v[45:46]
	v_add_f64 v[15:16], v[15:16], v[47:48]
	s_waitcnt lgkmcnt(0)
	v_mul_f64 v[51:52], v[39:40], v[43:44]
	v_mul_f64 v[59:60], v[37:38], v[43:44]
	ds_read_b128 v[31:34], v6 offset:3072
	v_fma_f64 v[55:56], v[2:3], v[29:30], -v[55:56]
	v_fma_f64 v[29:30], v[4:5], v[29:30], v[57:58]
	v_add_f64 v[7:8], v[7:8], v[53:54]
	v_add_f64 v[15:16], v[15:16], v[35:36]
	ds_read_b128 v[2:5], v9 offset:96
	ds_read_b128 v[43:46], v6 offset:3584
	ds_read_b128 v[47:50], v9 offset:112
	v_fma_f64 v[37:38], v[37:38], v[41:42], -v[51:52]
	v_fma_f64 v[39:40], v[39:40], v[41:42], v[59:60]
	v_add_nc_u32_e32 v6, 0x1000, v6
	s_waitcnt lgkmcnt(2)
	v_mul_f64 v[35:36], v[33:34], v[4:5]
	v_mul_f64 v[4:5], v[31:32], v[4:5]
	v_add_f64 v[7:8], v[7:8], v[55:56]
	v_add_f64 v[15:16], v[15:16], v[29:30]
	s_waitcnt lgkmcnt(0)
	v_mul_f64 v[29:30], v[45:46], v[49:50]
	v_mul_f64 v[41:42], v[43:44], v[49:50]
	v_fma_f64 v[31:32], v[31:32], v[2:3], -v[35:36]
	v_fma_f64 v[2:3], v[33:34], v[2:3], v[4:5]
	v_add_f64 v[4:5], v[7:8], v[37:38]
	v_add_f64 v[7:8], v[15:16], v[39:40]
	v_fma_f64 v[15:16], v[43:44], v[47:48], -v[29:30]
	v_fma_f64 v[29:30], v[45:46], v[47:48], v[41:42]
	v_add_f64 v[4:5], v[4:5], v[31:32]
	v_add_f64 v[7:8], v[7:8], v[2:3]
	;; [unrolled: 1-line block ×4, first 2 shown]
	s_cbranch_scc0 .LBB60_21
; %bb.22:                               ;   in Loop: Header=BB60_7 Depth=2
	flat_load_dwordx4 v[6:9], v[13:14]
	v_mul_f64 v[15:16], s[22:23], v[4:5]
	v_mul_f64 v[29:30], s[22:23], v[2:3]
	v_fma_f64 v[2:3], s[20:21], v[2:3], -v[15:16]
	v_fma_f64 v[4:5], s[20:21], v[4:5], v[29:30]
	s_waitcnt vmcnt(0) lgkmcnt(0)
	v_add_f64 v[2:3], v[2:3], v[6:7]
	v_add_f64 v[4:5], v[4:5], v[8:9]
	flat_store_dwordx4 v[13:14], v[2:5]
	s_branch .LBB60_6
.LBB60_23:
	s_endpgm
	.section	.rodata,"a",@progbits
	.p2align	6, 0x0
	.amdhsa_kernel _ZL24rocblas_symm_hemm_kernelILb1ELb0ELi32EPK19rocblas_complex_numIdEPKS3_PKPS1_EvbiiT2_T3_lllSA_lllT4_llli
		.amdhsa_group_segment_fixed_size 32768
		.amdhsa_private_segment_fixed_size 0
		.amdhsa_kernarg_size 384
		.amdhsa_user_sgpr_count 6
		.amdhsa_user_sgpr_private_segment_buffer 1
		.amdhsa_user_sgpr_dispatch_ptr 0
		.amdhsa_user_sgpr_queue_ptr 0
		.amdhsa_user_sgpr_kernarg_segment_ptr 1
		.amdhsa_user_sgpr_dispatch_id 0
		.amdhsa_user_sgpr_flat_scratch_init 0
		.amdhsa_user_sgpr_private_segment_size 0
		.amdhsa_wavefront_size32 1
		.amdhsa_uses_dynamic_stack 0
		.amdhsa_system_sgpr_private_segment_wavefront_offset 0
		.amdhsa_system_sgpr_workgroup_id_x 1
		.amdhsa_system_sgpr_workgroup_id_y 1
		.amdhsa_system_sgpr_workgroup_id_z 1
		.amdhsa_system_sgpr_workgroup_info 0
		.amdhsa_system_vgpr_workitem_id 1
		.amdhsa_next_free_vgpr 61
		.amdhsa_next_free_sgpr 36
		.amdhsa_reserve_vcc 1
		.amdhsa_reserve_flat_scratch 0
		.amdhsa_float_round_mode_32 0
		.amdhsa_float_round_mode_16_64 0
		.amdhsa_float_denorm_mode_32 3
		.amdhsa_float_denorm_mode_16_64 3
		.amdhsa_dx10_clamp 1
		.amdhsa_ieee_mode 1
		.amdhsa_fp16_overflow 0
		.amdhsa_workgroup_processor_mode 1
		.amdhsa_memory_ordered 1
		.amdhsa_forward_progress 1
		.amdhsa_shared_vgpr_count 0
		.amdhsa_exception_fp_ieee_invalid_op 0
		.amdhsa_exception_fp_denorm_src 0
		.amdhsa_exception_fp_ieee_div_zero 0
		.amdhsa_exception_fp_ieee_overflow 0
		.amdhsa_exception_fp_ieee_underflow 0
		.amdhsa_exception_fp_ieee_inexact 0
		.amdhsa_exception_int_div_zero 0
	.end_amdhsa_kernel
	.section	.text._ZL24rocblas_symm_hemm_kernelILb1ELb0ELi32EPK19rocblas_complex_numIdEPKS3_PKPS1_EvbiiT2_T3_lllSA_lllT4_llli,"axG",@progbits,_ZL24rocblas_symm_hemm_kernelILb1ELb0ELi32EPK19rocblas_complex_numIdEPKS3_PKPS1_EvbiiT2_T3_lllSA_lllT4_llli,comdat
.Lfunc_end60:
	.size	_ZL24rocblas_symm_hemm_kernelILb1ELb0ELi32EPK19rocblas_complex_numIdEPKS3_PKPS1_EvbiiT2_T3_lllSA_lllT4_llli, .Lfunc_end60-_ZL24rocblas_symm_hemm_kernelILb1ELb0ELi32EPK19rocblas_complex_numIdEPKS3_PKPS1_EvbiiT2_T3_lllSA_lllT4_llli
                                        ; -- End function
	.set _ZL24rocblas_symm_hemm_kernelILb1ELb0ELi32EPK19rocblas_complex_numIdEPKS3_PKPS1_EvbiiT2_T3_lllSA_lllT4_llli.num_vgpr, 61
	.set _ZL24rocblas_symm_hemm_kernelILb1ELb0ELi32EPK19rocblas_complex_numIdEPKS3_PKPS1_EvbiiT2_T3_lllSA_lllT4_llli.num_agpr, 0
	.set _ZL24rocblas_symm_hemm_kernelILb1ELb0ELi32EPK19rocblas_complex_numIdEPKS3_PKPS1_EvbiiT2_T3_lllSA_lllT4_llli.numbered_sgpr, 36
	.set _ZL24rocblas_symm_hemm_kernelILb1ELb0ELi32EPK19rocblas_complex_numIdEPKS3_PKPS1_EvbiiT2_T3_lllSA_lllT4_llli.num_named_barrier, 0
	.set _ZL24rocblas_symm_hemm_kernelILb1ELb0ELi32EPK19rocblas_complex_numIdEPKS3_PKPS1_EvbiiT2_T3_lllSA_lllT4_llli.private_seg_size, 0
	.set _ZL24rocblas_symm_hemm_kernelILb1ELb0ELi32EPK19rocblas_complex_numIdEPKS3_PKPS1_EvbiiT2_T3_lllSA_lllT4_llli.uses_vcc, 1
	.set _ZL24rocblas_symm_hemm_kernelILb1ELb0ELi32EPK19rocblas_complex_numIdEPKS3_PKPS1_EvbiiT2_T3_lllSA_lllT4_llli.uses_flat_scratch, 0
	.set _ZL24rocblas_symm_hemm_kernelILb1ELb0ELi32EPK19rocblas_complex_numIdEPKS3_PKPS1_EvbiiT2_T3_lllSA_lllT4_llli.has_dyn_sized_stack, 0
	.set _ZL24rocblas_symm_hemm_kernelILb1ELb0ELi32EPK19rocblas_complex_numIdEPKS3_PKPS1_EvbiiT2_T3_lllSA_lllT4_llli.has_recursion, 0
	.set _ZL24rocblas_symm_hemm_kernelILb1ELb0ELi32EPK19rocblas_complex_numIdEPKS3_PKPS1_EvbiiT2_T3_lllSA_lllT4_llli.has_indirect_call, 0
	.section	.AMDGPU.csdata,"",@progbits
; Kernel info:
; codeLenInByte = 1696
; TotalNumSgprs: 38
; NumVgprs: 61
; ScratchSize: 0
; MemoryBound: 1
; FloatMode: 240
; IeeeMode: 1
; LDSByteSize: 32768 bytes/workgroup (compile time only)
; SGPRBlocks: 0
; VGPRBlocks: 7
; NumSGPRsForWavesPerEU: 38
; NumVGPRsForWavesPerEU: 61
; Occupancy: 16
; WaveLimiterHint : 1
; COMPUTE_PGM_RSRC2:SCRATCH_EN: 0
; COMPUTE_PGM_RSRC2:USER_SGPR: 6
; COMPUTE_PGM_RSRC2:TRAP_HANDLER: 0
; COMPUTE_PGM_RSRC2:TGID_X_EN: 1
; COMPUTE_PGM_RSRC2:TGID_Y_EN: 1
; COMPUTE_PGM_RSRC2:TGID_Z_EN: 1
; COMPUTE_PGM_RSRC2:TIDIG_COMP_CNT: 1
	.section	.text._ZL24rocblas_symm_hemm_kernelILb1ELb1ELi32EPK19rocblas_complex_numIdEPKS3_PKPS1_EvbiiT2_T3_lllSA_lllT4_llli,"axG",@progbits,_ZL24rocblas_symm_hemm_kernelILb1ELb1ELi32EPK19rocblas_complex_numIdEPKS3_PKPS1_EvbiiT2_T3_lllSA_lllT4_llli,comdat
	.globl	_ZL24rocblas_symm_hemm_kernelILb1ELb1ELi32EPK19rocblas_complex_numIdEPKS3_PKPS1_EvbiiT2_T3_lllSA_lllT4_llli ; -- Begin function _ZL24rocblas_symm_hemm_kernelILb1ELb1ELi32EPK19rocblas_complex_numIdEPKS3_PKPS1_EvbiiT2_T3_lllSA_lllT4_llli
	.p2align	8
	.type	_ZL24rocblas_symm_hemm_kernelILb1ELb1ELi32EPK19rocblas_complex_numIdEPKS3_PKPS1_EvbiiT2_T3_lllSA_lllT4_llli,@function
_ZL24rocblas_symm_hemm_kernelILb1ELb1ELi32EPK19rocblas_complex_numIdEPKS3_PKPS1_EvbiiT2_T3_lllSA_lllT4_llli: ; @_ZL24rocblas_symm_hemm_kernelILb1ELb1ELi32EPK19rocblas_complex_numIdEPKS3_PKPS1_EvbiiT2_T3_lllSA_lllT4_llli
; %bb.0:
	s_load_dwordx8 s[12:19], s[4:5], 0x10
	s_waitcnt lgkmcnt(0)
	s_load_dwordx4 s[20:23], s[12:13], 0x0
	s_waitcnt lgkmcnt(0)
	v_cmp_eq_f64_e64 s0, s[20:21], 0
	v_cmp_eq_f64_e64 s1, s[22:23], 0
	s_and_b32 s0, s0, s1
	s_and_b32 vcc_lo, exec_lo, s0
	s_cbranch_vccnz .LBB61_23
; %bb.1:
	s_load_dwordx4 s[24:27], s[4:5], 0x0
	s_waitcnt lgkmcnt(0)
	s_add_i32 s0, s26, -1
	s_ashr_i32 s1, s0, 31
	s_lshr_b32 s1, s1, 27
	s_add_i32 s0, s0, s1
	s_ashr_i32 s27, s0, 5
	s_cmp_gt_i32 s7, s27
	s_cbranch_scc1 .LBB61_23
; %bb.2:
	s_mov_b32 s9, 0
	v_lshl_add_u32 v2, s6, 5, v0
	s_lshl_b64 s[28:29], s[8:9], 3
	v_lshlrev_b32_e32 v4, 4, v1
	s_add_u32 s0, s14, s28
	s_addc_u32 s1, s15, s29
	s_lshl_b64 s[16:17], s[16:17], 4
	s_load_dwordx2 s[30:31], s[0:1], 0x0
	s_clause 0x3
	s_load_dwordx4 s[0:3], s[4:5], 0x38
	s_load_dwordx4 s[8:11], s[4:5], 0x58
	s_load_dwordx2 s[12:13], s[4:5], 0x48
	s_load_dwordx2 s[14:15], s[4:5], 0x68
	v_ashrrev_i32_e32 v3, 31, v2
	v_lshlrev_b32_e32 v17, 9, v0
	v_or_b32_e32 v19, 0x4000, v4
	v_add_nc_u32_e32 v18, v17, v4
	v_add_nc_u32_e32 v20, v19, v17
	s_waitcnt lgkmcnt(0)
	s_add_u32 s16, s30, s16
	s_addc_u32 s17, s31, s17
	s_add_u32 s0, s0, s28
	s_addc_u32 s1, s1, s29
	;; [unrolled: 2-line block ×3, first 2 shown]
	s_bitcmp1_b32 s24, 0
	s_load_dwordx2 s[8:9], s[8:9], 0x0
	s_load_dwordx2 s[28:29], s[0:1], 0x0
	s_load_dword s4, s[4:5], 0x84
	v_cmp_gt_i32_e64 s0, s25, v2
	v_lshlrev_b64 v[2:3], 4, v[2:3]
	s_cselect_b32 s1, -1, 0
	s_lshl_b64 s[10:11], s[10:11], 4
	s_waitcnt lgkmcnt(0)
	s_add_u32 s5, s8, s10
	s_addc_u32 s6, s9, s11
	s_lshl_b64 s[2:3], s[2:3], 4
	v_add_co_u32 v21, vcc_lo, s5, v2
	s_add_u32 s2, s28, s2
	v_add_co_ci_u32_e64 v22, null, s6, v3, vcc_lo
	s_addc_u32 s3, s29, s3
	v_add_co_u32 v23, vcc_lo, s2, v2
	v_add_co_ci_u32_e64 v24, null, s3, v3, vcc_lo
	s_cmp_gt_i32 s26, 0
	s_cselect_b32 s3, -1, 0
	s_branch .LBB61_4
.LBB61_3:                               ;   in Loop: Header=BB61_4 Depth=1
	s_add_i32 s7, s7, s4
	s_cmp_gt_i32 s7, s27
	s_cbranch_scc1 .LBB61_23
.LBB61_4:                               ; =>This Loop Header: Depth=1
                                        ;     Child Loop BB61_7 Depth 2
                                        ;       Child Loop BB61_21 Depth 3
	s_andn2_b32 vcc_lo, exec_lo, s3
	s_cbranch_vccnz .LBB61_3
; %bb.5:                                ;   in Loop: Header=BB61_4 Depth=1
	v_lshl_add_u32 v10, s7, 5, v1
	s_mov_b32 s6, 0
	v_ashrrev_i32_e32 v11, 31, v10
	v_mul_lo_u32 v6, s19, v10
	v_mad_u64_u32 v[2:3], null, s18, v10, 0
	v_mul_lo_u32 v8, s15, v10
	v_mul_lo_u32 v7, s18, v11
	v_mad_u64_u32 v[4:5], null, s14, v10, 0
	v_mul_lo_u32 v9, s14, v11
	v_cmp_gt_i32_e32 vcc_lo, s26, v10
	v_add3_u32 v3, v3, v7, v6
	v_lshlrev_b64 v[6:7], 4, v[10:11]
	s_and_b32 s5, s0, vcc_lo
	v_add3_u32 v5, v5, v9, v8
	v_lshlrev_b64 v[2:3], 4, v[2:3]
	v_add_co_u32 v25, s2, s16, v6
	v_lshlrev_b64 v[4:5], 4, v[4:5]
	v_add_co_ci_u32_e64 v26, null, s17, v7, s2
	v_add_co_u32 v27, s2, s16, v2
	v_add_co_ci_u32_e64 v28, null, s17, v3, s2
	v_add_co_u32 v11, s2, v21, v4
	;; [unrolled: 2-line block ×3, first 2 shown]
	v_add_co_ci_u32_e64 v14, null, v28, v7, s2
	s_branch .LBB61_7
.LBB61_6:                               ;   in Loop: Header=BB61_7 Depth=2
	s_or_b32 exec_lo, exec_lo, s2
	s_add_i32 s6, s6, 32
	s_waitcnt lgkmcnt(0)
	s_waitcnt_vscnt null, 0x0
	s_cmp_ge_i32 s6, s26
	s_barrier
	buffer_gl0_inv
	s_cbranch_scc1 .LBB61_3
.LBB61_7:                               ;   Parent Loop BB61_4 Depth=1
                                        ; =>  This Loop Header: Depth=2
                                        ;       Child Loop BB61_21 Depth 3
	v_add_nc_u32_e32 v4, s6, v1
	v_mov_b32_e32 v2, 0
	v_mov_b32_e32 v6, 0
	;; [unrolled: 1-line block ×4, first 2 shown]
	v_cmp_gt_i32_e32 vcc_lo, s26, v4
	v_mov_b32_e32 v7, 0
	v_mov_b32_e32 v9, 0
	s_and_b32 s8, s0, vcc_lo
	s_and_saveexec_b32 s2, s8
	s_cbranch_execz .LBB61_9
; %bb.8:                                ;   in Loop: Header=BB61_7 Depth=2
	v_ashrrev_i32_e32 v6, 31, v4
	v_mul_lo_u32 v7, s13, v4
	v_mad_u64_u32 v[4:5], null, s12, v4, 0
	v_mul_lo_u32 v6, s12, v6
	v_add3_u32 v5, v5, v6, v7
	v_lshlrev_b64 v[4:5], 4, v[4:5]
	v_add_co_u32 v4, vcc_lo, v23, v4
	v_add_co_ci_u32_e64 v5, null, v24, v5, vcc_lo
	flat_load_dwordx4 v[6:9], v[4:5]
.LBB61_9:                               ;   in Loop: Header=BB61_7 Depth=2
	s_or_b32 exec_lo, exec_lo, s2
	v_add_nc_u32_e32 v15, s6, v0
	s_mov_b32 s8, exec_lo
	s_waitcnt vmcnt(0) lgkmcnt(0)
	ds_write_b128 v18, v[6:9]
	v_cndmask_b32_e64 v4, v10, v15, s1
	v_cndmask_b32_e64 v5, v15, v10, s1
	v_cmp_gt_i32_e32 vcc_lo, v4, v5
	v_cndmask_b32_e32 v16, v15, v10, vcc_lo
	v_cndmask_b32_e32 v29, v10, v15, vcc_lo
	v_cmp_le_i32_e32 vcc_lo, v4, v5
	v_mov_b32_e32 v4, 0
	v_mov_b32_e32 v5, 0
	v_max_i32_e32 v16, v16, v29
	v_cmpx_gt_i32_e64 s26, v16
	s_cbranch_execz .LBB61_19
; %bb.10:                               ;   in Loop: Header=BB61_7 Depth=2
                                        ; implicit-def: $vgpr4_vgpr5
	s_and_saveexec_b32 s2, vcc_lo
	s_xor_b32 s2, exec_lo, s2
	s_cbranch_execz .LBB61_16
; %bb.11:                               ;   in Loop: Header=BB61_7 Depth=2
	s_mov_b32 s9, exec_lo
                                        ; implicit-def: $vgpr4_vgpr5
	v_cmpx_ne_u32_e64 v15, v10
	s_xor_b32 s9, exec_lo, s9
	s_cbranch_execz .LBB61_13
; %bb.12:                               ;   in Loop: Header=BB61_7 Depth=2
	v_ashrrev_i32_e32 v16, 31, v15
	v_lshlrev_b64 v[2:3], 4, v[15:16]
	v_add_co_u32 v2, vcc_lo, v27, v2
	v_add_co_ci_u32_e64 v3, null, v28, v3, vcc_lo
	flat_load_dwordx4 v[2:5], v[2:3]
.LBB61_13:                              ;   in Loop: Header=BB61_7 Depth=2
	s_andn2_saveexec_b32 s9, s9
	s_cbranch_execz .LBB61_15
; %bb.14:                               ;   in Loop: Header=BB61_7 Depth=2
	s_waitcnt vmcnt(0) lgkmcnt(0)
	flat_load_dwordx2 v[2:3], v[13:14]
	v_mov_b32_e32 v4, 0
	v_mov_b32_e32 v5, 0
.LBB61_15:                              ;   in Loop: Header=BB61_7 Depth=2
	s_or_b32 exec_lo, exec_lo, s9
                                        ; implicit-def: $vgpr15
.LBB61_16:                              ;   in Loop: Header=BB61_7 Depth=2
	s_andn2_saveexec_b32 s2, s2
	s_cbranch_execz .LBB61_18
; %bb.17:                               ;   in Loop: Header=BB61_7 Depth=2
	s_waitcnt vmcnt(0) lgkmcnt(0)
	v_ashrrev_i32_e32 v4, 31, v15
	v_mul_lo_u32 v5, s19, v15
	v_mad_u64_u32 v[2:3], null, s18, v15, 0
	v_mul_lo_u32 v4, s18, v4
	v_add3_u32 v3, v3, v4, v5
	v_lshlrev_b64 v[2:3], 4, v[2:3]
	v_add_co_u32 v2, vcc_lo, v25, v2
	v_add_co_ci_u32_e64 v3, null, v26, v3, vcc_lo
	flat_load_dwordx4 v[2:5], v[2:3]
	s_waitcnt vmcnt(0) lgkmcnt(0)
	v_xor_b32_e32 v5, 0x80000000, v5
.LBB61_18:                              ;   in Loop: Header=BB61_7 Depth=2
	s_or_b32 exec_lo, exec_lo, s2
.LBB61_19:                              ;   in Loop: Header=BB61_7 Depth=2
	s_or_b32 exec_lo, exec_lo, s8
	s_waitcnt vmcnt(0) lgkmcnt(0)
	ds_write_b128 v20, v[2:5]
	s_waitcnt lgkmcnt(0)
	s_barrier
	buffer_gl0_inv
	s_and_saveexec_b32 s2, s5
	s_cbranch_execz .LBB61_6
; %bb.20:                               ;   in Loop: Header=BB61_7 Depth=2
	v_mov_b32_e32 v2, 0
	v_mov_b32_e32 v4, 0
	;; [unrolled: 1-line block ×5, first 2 shown]
	s_mov_b32 s8, 0
.LBB61_21:                              ;   Parent Loop BB61_4 Depth=1
                                        ;     Parent Loop BB61_7 Depth=2
                                        ; =>    This Inner Loop Header: Depth=3
	v_add_nc_u32_e32 v9, s8, v17
	s_addk_i32 s8, 0x80
	ds_read_b128 v[29:32], v6
	ds_read_b128 v[33:36], v9
	ds_read_b128 v[37:40], v6 offset:512
	ds_read_b128 v[41:44], v9 offset:16
	;; [unrolled: 1-line block ×3, first 2 shown]
	s_cmpk_eq_i32 s8, 0x200
	s_waitcnt lgkmcnt(3)
	v_mul_f64 v[7:8], v[31:32], v[35:36]
	v_mul_f64 v[15:16], v[29:30], v[35:36]
	s_waitcnt lgkmcnt(1)
	v_mul_f64 v[53:54], v[39:40], v[43:44]
	v_mul_f64 v[43:44], v[37:38], v[43:44]
	v_fma_f64 v[7:8], v[29:30], v[33:34], -v[7:8]
	v_fma_f64 v[15:16], v[31:32], v[33:34], v[15:16]
	ds_read_b128 v[29:32], v9 offset:32
	ds_read_b128 v[33:36], v6 offset:1536
	;; [unrolled: 1-line block ×3, first 2 shown]
	v_fma_f64 v[37:38], v[37:38], v[41:42], -v[53:54]
	v_fma_f64 v[39:40], v[39:40], v[41:42], v[43:44]
	s_waitcnt lgkmcnt(2)
	v_mul_f64 v[55:56], v[47:48], v[31:32]
	v_mul_f64 v[31:32], v[45:46], v[31:32]
	v_add_f64 v[7:8], v[2:3], v[7:8]
	v_add_f64 v[15:16], v[4:5], v[15:16]
	s_waitcnt lgkmcnt(0)
	v_mul_f64 v[53:54], v[35:36], v[51:52]
	v_mul_f64 v[51:52], v[33:34], v[51:52]
	ds_read_b128 v[2:5], v6 offset:2048
	v_fma_f64 v[45:46], v[45:46], v[29:30], -v[55:56]
	v_fma_f64 v[47:48], v[47:48], v[29:30], v[31:32]
	v_add_f64 v[7:8], v[7:8], v[37:38]
	v_add_f64 v[15:16], v[15:16], v[39:40]
	ds_read_b128 v[29:32], v9 offset:64
	ds_read_b128 v[37:40], v6 offset:2560
	;; [unrolled: 1-line block ×3, first 2 shown]
	v_fma_f64 v[53:54], v[33:34], v[49:50], -v[53:54]
	v_fma_f64 v[35:36], v[35:36], v[49:50], v[51:52]
	s_waitcnt lgkmcnt(2)
	v_mul_f64 v[55:56], v[4:5], v[31:32]
	v_mul_f64 v[57:58], v[2:3], v[31:32]
	v_add_f64 v[7:8], v[7:8], v[45:46]
	v_add_f64 v[15:16], v[15:16], v[47:48]
	s_waitcnt lgkmcnt(0)
	v_mul_f64 v[51:52], v[39:40], v[43:44]
	v_mul_f64 v[59:60], v[37:38], v[43:44]
	ds_read_b128 v[31:34], v6 offset:3072
	v_fma_f64 v[55:56], v[2:3], v[29:30], -v[55:56]
	v_fma_f64 v[29:30], v[4:5], v[29:30], v[57:58]
	v_add_f64 v[7:8], v[7:8], v[53:54]
	v_add_f64 v[15:16], v[15:16], v[35:36]
	ds_read_b128 v[2:5], v9 offset:96
	ds_read_b128 v[43:46], v6 offset:3584
	;; [unrolled: 1-line block ×3, first 2 shown]
	v_fma_f64 v[37:38], v[37:38], v[41:42], -v[51:52]
	v_fma_f64 v[39:40], v[39:40], v[41:42], v[59:60]
	v_add_nc_u32_e32 v6, 0x1000, v6
	s_waitcnt lgkmcnt(2)
	v_mul_f64 v[35:36], v[33:34], v[4:5]
	v_mul_f64 v[4:5], v[31:32], v[4:5]
	v_add_f64 v[7:8], v[7:8], v[55:56]
	v_add_f64 v[15:16], v[15:16], v[29:30]
	s_waitcnt lgkmcnt(0)
	v_mul_f64 v[29:30], v[45:46], v[49:50]
	v_mul_f64 v[41:42], v[43:44], v[49:50]
	v_fma_f64 v[31:32], v[31:32], v[2:3], -v[35:36]
	v_fma_f64 v[2:3], v[33:34], v[2:3], v[4:5]
	v_add_f64 v[4:5], v[7:8], v[37:38]
	v_add_f64 v[7:8], v[15:16], v[39:40]
	v_fma_f64 v[15:16], v[43:44], v[47:48], -v[29:30]
	v_fma_f64 v[29:30], v[45:46], v[47:48], v[41:42]
	v_add_f64 v[4:5], v[4:5], v[31:32]
	v_add_f64 v[7:8], v[7:8], v[2:3]
	;; [unrolled: 1-line block ×4, first 2 shown]
	s_cbranch_scc0 .LBB61_21
; %bb.22:                               ;   in Loop: Header=BB61_7 Depth=2
	flat_load_dwordx4 v[6:9], v[11:12]
	v_mul_f64 v[15:16], s[22:23], v[4:5]
	v_mul_f64 v[29:30], s[22:23], v[2:3]
	v_fma_f64 v[2:3], s[20:21], v[2:3], -v[15:16]
	v_fma_f64 v[4:5], s[20:21], v[4:5], v[29:30]
	s_waitcnt vmcnt(0) lgkmcnt(0)
	v_add_f64 v[2:3], v[2:3], v[6:7]
	v_add_f64 v[4:5], v[4:5], v[8:9]
	flat_store_dwordx4 v[11:12], v[2:5]
	s_branch .LBB61_6
.LBB61_23:
	s_endpgm
	.section	.rodata,"a",@progbits
	.p2align	6, 0x0
	.amdhsa_kernel _ZL24rocblas_symm_hemm_kernelILb1ELb1ELi32EPK19rocblas_complex_numIdEPKS3_PKPS1_EvbiiT2_T3_lllSA_lllT4_llli
		.amdhsa_group_segment_fixed_size 32768
		.amdhsa_private_segment_fixed_size 0
		.amdhsa_kernarg_size 384
		.amdhsa_user_sgpr_count 6
		.amdhsa_user_sgpr_private_segment_buffer 1
		.amdhsa_user_sgpr_dispatch_ptr 0
		.amdhsa_user_sgpr_queue_ptr 0
		.amdhsa_user_sgpr_kernarg_segment_ptr 1
		.amdhsa_user_sgpr_dispatch_id 0
		.amdhsa_user_sgpr_flat_scratch_init 0
		.amdhsa_user_sgpr_private_segment_size 0
		.amdhsa_wavefront_size32 1
		.amdhsa_uses_dynamic_stack 0
		.amdhsa_system_sgpr_private_segment_wavefront_offset 0
		.amdhsa_system_sgpr_workgroup_id_x 1
		.amdhsa_system_sgpr_workgroup_id_y 1
		.amdhsa_system_sgpr_workgroup_id_z 1
		.amdhsa_system_sgpr_workgroup_info 0
		.amdhsa_system_vgpr_workitem_id 1
		.amdhsa_next_free_vgpr 61
		.amdhsa_next_free_sgpr 32
		.amdhsa_reserve_vcc 1
		.amdhsa_reserve_flat_scratch 0
		.amdhsa_float_round_mode_32 0
		.amdhsa_float_round_mode_16_64 0
		.amdhsa_float_denorm_mode_32 3
		.amdhsa_float_denorm_mode_16_64 3
		.amdhsa_dx10_clamp 1
		.amdhsa_ieee_mode 1
		.amdhsa_fp16_overflow 0
		.amdhsa_workgroup_processor_mode 1
		.amdhsa_memory_ordered 1
		.amdhsa_forward_progress 1
		.amdhsa_shared_vgpr_count 0
		.amdhsa_exception_fp_ieee_invalid_op 0
		.amdhsa_exception_fp_denorm_src 0
		.amdhsa_exception_fp_ieee_div_zero 0
		.amdhsa_exception_fp_ieee_overflow 0
		.amdhsa_exception_fp_ieee_underflow 0
		.amdhsa_exception_fp_ieee_inexact 0
		.amdhsa_exception_int_div_zero 0
	.end_amdhsa_kernel
	.section	.text._ZL24rocblas_symm_hemm_kernelILb1ELb1ELi32EPK19rocblas_complex_numIdEPKS3_PKPS1_EvbiiT2_T3_lllSA_lllT4_llli,"axG",@progbits,_ZL24rocblas_symm_hemm_kernelILb1ELb1ELi32EPK19rocblas_complex_numIdEPKS3_PKPS1_EvbiiT2_T3_lllSA_lllT4_llli,comdat
.Lfunc_end61:
	.size	_ZL24rocblas_symm_hemm_kernelILb1ELb1ELi32EPK19rocblas_complex_numIdEPKS3_PKPS1_EvbiiT2_T3_lllSA_lllT4_llli, .Lfunc_end61-_ZL24rocblas_symm_hemm_kernelILb1ELb1ELi32EPK19rocblas_complex_numIdEPKS3_PKPS1_EvbiiT2_T3_lllSA_lllT4_llli
                                        ; -- End function
	.set _ZL24rocblas_symm_hemm_kernelILb1ELb1ELi32EPK19rocblas_complex_numIdEPKS3_PKPS1_EvbiiT2_T3_lllSA_lllT4_llli.num_vgpr, 61
	.set _ZL24rocblas_symm_hemm_kernelILb1ELb1ELi32EPK19rocblas_complex_numIdEPKS3_PKPS1_EvbiiT2_T3_lllSA_lllT4_llli.num_agpr, 0
	.set _ZL24rocblas_symm_hemm_kernelILb1ELb1ELi32EPK19rocblas_complex_numIdEPKS3_PKPS1_EvbiiT2_T3_lllSA_lllT4_llli.numbered_sgpr, 32
	.set _ZL24rocblas_symm_hemm_kernelILb1ELb1ELi32EPK19rocblas_complex_numIdEPKS3_PKPS1_EvbiiT2_T3_lllSA_lllT4_llli.num_named_barrier, 0
	.set _ZL24rocblas_symm_hemm_kernelILb1ELb1ELi32EPK19rocblas_complex_numIdEPKS3_PKPS1_EvbiiT2_T3_lllSA_lllT4_llli.private_seg_size, 0
	.set _ZL24rocblas_symm_hemm_kernelILb1ELb1ELi32EPK19rocblas_complex_numIdEPKS3_PKPS1_EvbiiT2_T3_lllSA_lllT4_llli.uses_vcc, 1
	.set _ZL24rocblas_symm_hemm_kernelILb1ELb1ELi32EPK19rocblas_complex_numIdEPKS3_PKPS1_EvbiiT2_T3_lllSA_lllT4_llli.uses_flat_scratch, 0
	.set _ZL24rocblas_symm_hemm_kernelILb1ELb1ELi32EPK19rocblas_complex_numIdEPKS3_PKPS1_EvbiiT2_T3_lllSA_lllT4_llli.has_dyn_sized_stack, 0
	.set _ZL24rocblas_symm_hemm_kernelILb1ELb1ELi32EPK19rocblas_complex_numIdEPKS3_PKPS1_EvbiiT2_T3_lllSA_lllT4_llli.has_recursion, 0
	.set _ZL24rocblas_symm_hemm_kernelILb1ELb1ELi32EPK19rocblas_complex_numIdEPKS3_PKPS1_EvbiiT2_T3_lllSA_lllT4_llli.has_indirect_call, 0
	.section	.AMDGPU.csdata,"",@progbits
; Kernel info:
; codeLenInByte = 1672
; TotalNumSgprs: 34
; NumVgprs: 61
; ScratchSize: 0
; MemoryBound: 1
; FloatMode: 240
; IeeeMode: 1
; LDSByteSize: 32768 bytes/workgroup (compile time only)
; SGPRBlocks: 0
; VGPRBlocks: 7
; NumSGPRsForWavesPerEU: 34
; NumVGPRsForWavesPerEU: 61
; Occupancy: 16
; WaveLimiterHint : 1
; COMPUTE_PGM_RSRC2:SCRATCH_EN: 0
; COMPUTE_PGM_RSRC2:USER_SGPR: 6
; COMPUTE_PGM_RSRC2:TRAP_HANDLER: 0
; COMPUTE_PGM_RSRC2:TGID_X_EN: 1
; COMPUTE_PGM_RSRC2:TGID_Y_EN: 1
; COMPUTE_PGM_RSRC2:TGID_Z_EN: 1
; COMPUTE_PGM_RSRC2:TIDIG_COMP_CNT: 1
	.section	.text._ZL24rocblas_symm_hemm_kernelILb1ELb0ELi32E19rocblas_complex_numIdEPKPKS1_PKPS1_EvbiiT2_T3_lllSA_lllT4_llli,"axG",@progbits,_ZL24rocblas_symm_hemm_kernelILb1ELb0ELi32E19rocblas_complex_numIdEPKPKS1_PKPS1_EvbiiT2_T3_lllSA_lllT4_llli,comdat
	.globl	_ZL24rocblas_symm_hemm_kernelILb1ELb0ELi32E19rocblas_complex_numIdEPKPKS1_PKPS1_EvbiiT2_T3_lllSA_lllT4_llli ; -- Begin function _ZL24rocblas_symm_hemm_kernelILb1ELb0ELi32E19rocblas_complex_numIdEPKPKS1_PKPS1_EvbiiT2_T3_lllSA_lllT4_llli
	.p2align	8
	.type	_ZL24rocblas_symm_hemm_kernelILb1ELb0ELi32E19rocblas_complex_numIdEPKPKS1_PKPS1_EvbiiT2_T3_lllSA_lllT4_llli,@function
_ZL24rocblas_symm_hemm_kernelILb1ELb0ELi32E19rocblas_complex_numIdEPKPKS1_PKPS1_EvbiiT2_T3_lllSA_lllT4_llli: ; @_ZL24rocblas_symm_hemm_kernelILb1ELb0ELi32E19rocblas_complex_numIdEPKPKS1_PKPS1_EvbiiT2_T3_lllSA_lllT4_llli
; %bb.0:
	s_load_dwordx8 s[12:19], s[4:5], 0x10
	s_waitcnt lgkmcnt(0)
	v_cmp_eq_f64_e64 s0, s[12:13], 0
	v_cmp_eq_f64_e64 s1, s[14:15], 0
	s_and_b32 s0, s0, s1
	s_and_b32 vcc_lo, exec_lo, s0
	s_cbranch_vccnz .LBB62_23
; %bb.1:
	s_load_dwordx4 s[20:23], s[4:5], 0x0
	s_waitcnt lgkmcnt(0)
	s_add_i32 s0, s22, -1
	s_ashr_i32 s1, s0, 31
	s_lshr_b32 s1, s1, 27
	s_add_i32 s0, s0, s1
	s_ashr_i32 s23, s0, 5
	s_cmp_gt_i32 s7, s23
	s_cbranch_scc1 .LBB62_23
; %bb.2:
	s_load_dwordx4 s[24:27], s[4:5], 0x40
	s_mov_b32 s9, 0
	v_lshl_add_u32 v10, s6, 5, v0
	s_lshl_b64 s[10:11], s[8:9], 3
	v_lshlrev_b32_e32 v17, 9, v0
	s_add_u32 s16, s16, s10
	s_addc_u32 s17, s17, s11
	v_ashrrev_i32_e32 v11, 31, v10
	v_lshlrev_b32_e32 v4, 4, v1
	v_add_nc_u32_e32 v18, v17, v4
	v_or_b32_e32 v19, 0x4000, v4
	v_lshlrev_b64 v[4:5], 4, v[10:11]
	v_add_nc_u32_e32 v20, v19, v17
	s_waitcnt lgkmcnt(0)
	s_add_u32 s0, s24, s10
	s_addc_u32 s1, s25, s11
	s_lshl_b64 s[26:27], s[26:27], 4
	s_load_dwordx2 s[24:25], s[0:1], 0x0
	s_clause 0x1
	s_load_dwordx4 s[0:3], s[4:5], 0x60
	s_load_dwordx2 s[8:9], s[4:5], 0x30
	s_waitcnt lgkmcnt(0)
	s_add_u32 s6, s24, s26
	s_addc_u32 s24, s25, s27
	s_add_u32 s0, s0, s10
	s_addc_u32 s1, s1, s11
	v_mul_lo_u32 v6, s8, v11
	s_load_dwordx2 s[26:27], s[0:1], 0x0
	s_load_dwordx2 s[10:11], s[4:5], 0x50
	;; [unrolled: 1-line block ×3, first 2 shown]
	v_mul_lo_u32 v7, s9, v10
	v_mad_u64_u32 v[2:3], null, s8, v10, 0
	s_bitcmp1_b32 s20, 0
	s_clause 0x1
	s_load_dwordx2 s[16:17], s[4:5], 0x70
	s_load_dword s4, s[4:5], 0x8c
	s_cselect_b32 s1, -1, 0
	s_lshl_b64 s[2:3], s[2:3], 4
	v_cmp_gt_i32_e64 s0, s21, v10
	v_add3_u32 v3, v3, v6, v7
	v_lshlrev_b64 v[2:3], 4, v[2:3]
	s_waitcnt lgkmcnt(0)
	s_add_u32 s5, s26, s2
	s_addc_u32 s20, s27, s3
	s_lshl_b64 s[2:3], s[18:19], 4
	v_add_co_u32 v21, vcc_lo, s5, v4
	s_add_u32 s2, s28, s2
	v_add_co_ci_u32_e64 v22, null, s20, v5, vcc_lo
	s_addc_u32 s3, s29, s3
	v_add_co_u32 v23, vcc_lo, s2, v4
	v_add_co_ci_u32_e64 v24, null, s3, v5, vcc_lo
	v_add_co_u32 v25, vcc_lo, s2, v2
	v_add_co_ci_u32_e64 v26, null, s3, v3, vcc_lo
	v_add_co_u32 v11, vcc_lo, v23, v2
	v_add_co_ci_u32_e64 v12, null, v24, v3, vcc_lo
	s_cmp_gt_i32 s21, 0
	s_cselect_b32 s5, -1, 0
	s_branch .LBB62_4
.LBB62_3:                               ;   in Loop: Header=BB62_4 Depth=1
	s_add_i32 s7, s7, s4
	s_cmp_gt_i32 s7, s23
	s_cbranch_scc1 .LBB62_23
.LBB62_4:                               ; =>This Loop Header: Depth=1
                                        ;     Child Loop BB62_7 Depth 2
                                        ;       Child Loop BB62_21 Depth 3
	s_andn2_b32 vcc_lo, exec_lo, s5
	s_cbranch_vccnz .LBB62_3
; %bb.5:                                ;   in Loop: Header=BB62_4 Depth=1
	v_lshl_add_u32 v6, s7, 5, v1
	s_mov_b32 s19, 0
	v_ashrrev_i32_e32 v7, 31, v6
	v_mul_lo_u32 v8, s11, v6
	v_mad_u64_u32 v[2:3], null, s10, v6, 0
	v_mul_lo_u32 v13, s17, v6
	v_mul_lo_u32 v9, s10, v7
	v_mad_u64_u32 v[4:5], null, s16, v6, 0
	v_mul_lo_u32 v7, s16, v7
	v_cmp_gt_i32_e32 vcc_lo, s22, v6
	v_add3_u32 v3, v3, v9, v8
	s_and_b32 s18, s0, vcc_lo
	v_add3_u32 v5, v5, v7, v13
	v_lshlrev_b64 v[2:3], 4, v[2:3]
	v_lshlrev_b64 v[4:5], 4, v[4:5]
	v_add_co_u32 v27, s2, s6, v2
	v_add_co_ci_u32_e64 v28, null, s24, v3, s2
	v_add_co_u32 v13, s2, v21, v4
	v_add_co_ci_u32_e64 v14, null, v22, v5, s2
	s_branch .LBB62_7
.LBB62_6:                               ;   in Loop: Header=BB62_7 Depth=2
	s_or_b32 exec_lo, exec_lo, s2
	s_add_i32 s19, s19, 32
	s_waitcnt lgkmcnt(0)
	s_waitcnt_vscnt null, 0x0
	s_cmp_ge_i32 s19, s21
	s_barrier
	buffer_gl0_inv
	s_cbranch_scc1 .LBB62_3
.LBB62_7:                               ;   Parent Loop BB62_4 Depth=1
                                        ; =>  This Loop Header: Depth=2
                                        ;       Child Loop BB62_21 Depth 3
	v_add_nc_u32_e32 v4, s19, v1
	v_mov_b32_e32 v8, 0
	v_mov_b32_e32 v9, 0
	s_mov_b32 s20, exec_lo
	v_cndmask_b32_e64 v2, v4, v10, s1
	v_cndmask_b32_e64 v3, v10, v4, s1
	v_cmp_gt_i32_e64 s2, v2, v3
	v_cndmask_b32_e64 v5, v10, v4, s2
	v_cndmask_b32_e64 v6, v4, v10, s2
	v_cmp_le_i32_e64 s2, v2, v3
	v_mov_b32_e32 v2, 0
	v_mov_b32_e32 v3, 0
	v_max_i32_e32 v5, v5, v6
	v_mov_b32_e32 v6, 0
	v_mov_b32_e32 v7, 0
	v_cmpx_gt_i32_e64 s21, v5
	s_cbranch_execz .LBB62_17
; %bb.8:                                ;   in Loop: Header=BB62_7 Depth=2
                                        ; implicit-def: $vgpr8_vgpr9
	s_and_saveexec_b32 s3, s2
	s_xor_b32 s3, exec_lo, s3
	s_cbranch_execz .LBB62_14
; %bb.9:                                ;   in Loop: Header=BB62_7 Depth=2
	s_mov_b32 s25, exec_lo
                                        ; implicit-def: $vgpr8_vgpr9
	v_cmpx_ne_u32_e64 v10, v4
	s_xor_b32 s25, exec_lo, s25
	s_cbranch_execz .LBB62_11
; %bb.10:                               ;   in Loop: Header=BB62_7 Depth=2
	v_ashrrev_i32_e32 v6, 31, v4
	v_mul_lo_u32 v7, s9, v4
	v_mad_u64_u32 v[4:5], null, s8, v4, 0
	v_mul_lo_u32 v6, s8, v6
	v_add3_u32 v5, v5, v6, v7
	v_lshlrev_b64 v[4:5], 4, v[4:5]
	v_add_co_u32 v4, s2, v23, v4
	v_add_co_ci_u32_e64 v5, null, v24, v5, s2
	flat_load_dwordx4 v[6:9], v[4:5]
.LBB62_11:                              ;   in Loop: Header=BB62_7 Depth=2
	s_andn2_saveexec_b32 s2, s25
	s_cbranch_execz .LBB62_13
; %bb.12:                               ;   in Loop: Header=BB62_7 Depth=2
	s_waitcnt vmcnt(0) lgkmcnt(0)
	flat_load_dwordx2 v[6:7], v[11:12]
	v_mov_b32_e32 v8, 0
	v_mov_b32_e32 v9, 0
.LBB62_13:                              ;   in Loop: Header=BB62_7 Depth=2
	s_or_b32 exec_lo, exec_lo, s2
                                        ; implicit-def: $vgpr4
.LBB62_14:                              ;   in Loop: Header=BB62_7 Depth=2
	s_andn2_saveexec_b32 s3, s3
	s_cbranch_execz .LBB62_16
; %bb.15:                               ;   in Loop: Header=BB62_7 Depth=2
	v_ashrrev_i32_e32 v5, 31, v4
	v_lshlrev_b64 v[4:5], 4, v[4:5]
	v_add_co_u32 v4, s2, v25, v4
	v_add_co_ci_u32_e64 v5, null, v26, v5, s2
	s_waitcnt vmcnt(0) lgkmcnt(0)
	flat_load_dwordx4 v[6:9], v[4:5]
	s_waitcnt vmcnt(0) lgkmcnt(0)
	v_xor_b32_e32 v9, 0x80000000, v9
.LBB62_16:                              ;   in Loop: Header=BB62_7 Depth=2
	s_or_b32 exec_lo, exec_lo, s3
.LBB62_17:                              ;   in Loop: Header=BB62_7 Depth=2
	s_or_b32 exec_lo, exec_lo, s20
	v_add_nc_u32_e32 v15, s19, v0
	v_mov_b32_e32 v4, 0
	v_mov_b32_e32 v5, 0
	s_waitcnt vmcnt(0) lgkmcnt(0)
	ds_write_b128 v18, v[6:9]
	v_cmp_gt_i32_e64 s2, s21, v15
	s_and_b32 s2, s2, vcc_lo
	s_and_saveexec_b32 s3, s2
	s_cbranch_execz .LBB62_19
; %bb.18:                               ;   in Loop: Header=BB62_7 Depth=2
	v_ashrrev_i32_e32 v16, 31, v15
	v_lshlrev_b64 v[2:3], 4, v[15:16]
	v_add_co_u32 v2, s2, v27, v2
	v_add_co_ci_u32_e64 v3, null, v28, v3, s2
	flat_load_dwordx4 v[2:5], v[2:3]
.LBB62_19:                              ;   in Loop: Header=BB62_7 Depth=2
	s_or_b32 exec_lo, exec_lo, s3
	s_waitcnt vmcnt(0) lgkmcnt(0)
	ds_write_b128 v20, v[2:5]
	s_waitcnt lgkmcnt(0)
	s_barrier
	buffer_gl0_inv
	s_and_saveexec_b32 s2, s18
	s_cbranch_execz .LBB62_6
; %bb.20:                               ;   in Loop: Header=BB62_7 Depth=2
	v_mov_b32_e32 v2, 0
	v_mov_b32_e32 v4, 0
	;; [unrolled: 1-line block ×5, first 2 shown]
	s_mov_b32 s3, 0
.LBB62_21:                              ;   Parent Loop BB62_4 Depth=1
                                        ;     Parent Loop BB62_7 Depth=2
                                        ; =>    This Inner Loop Header: Depth=3
	v_add_nc_u32_e32 v9, s3, v17
	s_addk_i32 s3, 0x80
	ds_read_b128 v[29:32], v6
	ds_read_b128 v[33:36], v9
	ds_read_b128 v[37:40], v6 offset:512
	ds_read_b128 v[41:44], v9 offset:16
	;; [unrolled: 1-line block ×3, first 2 shown]
	s_cmpk_eq_i32 s3, 0x200
	s_waitcnt lgkmcnt(3)
	v_mul_f64 v[7:8], v[31:32], v[35:36]
	v_mul_f64 v[15:16], v[29:30], v[35:36]
	s_waitcnt lgkmcnt(1)
	v_mul_f64 v[53:54], v[39:40], v[43:44]
	v_mul_f64 v[43:44], v[37:38], v[43:44]
	v_fma_f64 v[7:8], v[29:30], v[33:34], -v[7:8]
	v_fma_f64 v[15:16], v[31:32], v[33:34], v[15:16]
	ds_read_b128 v[29:32], v9 offset:32
	ds_read_b128 v[33:36], v6 offset:1536
	;; [unrolled: 1-line block ×3, first 2 shown]
	v_fma_f64 v[37:38], v[37:38], v[41:42], -v[53:54]
	v_fma_f64 v[39:40], v[39:40], v[41:42], v[43:44]
	s_waitcnt lgkmcnt(2)
	v_mul_f64 v[55:56], v[47:48], v[31:32]
	v_mul_f64 v[31:32], v[45:46], v[31:32]
	v_add_f64 v[7:8], v[2:3], v[7:8]
	v_add_f64 v[15:16], v[4:5], v[15:16]
	s_waitcnt lgkmcnt(0)
	v_mul_f64 v[53:54], v[35:36], v[51:52]
	v_mul_f64 v[51:52], v[33:34], v[51:52]
	ds_read_b128 v[2:5], v6 offset:2048
	v_fma_f64 v[45:46], v[45:46], v[29:30], -v[55:56]
	v_fma_f64 v[47:48], v[47:48], v[29:30], v[31:32]
	v_add_f64 v[7:8], v[7:8], v[37:38]
	v_add_f64 v[15:16], v[15:16], v[39:40]
	ds_read_b128 v[29:32], v9 offset:64
	ds_read_b128 v[37:40], v6 offset:2560
	;; [unrolled: 1-line block ×3, first 2 shown]
	v_fma_f64 v[53:54], v[33:34], v[49:50], -v[53:54]
	v_fma_f64 v[35:36], v[35:36], v[49:50], v[51:52]
	s_waitcnt lgkmcnt(2)
	v_mul_f64 v[55:56], v[4:5], v[31:32]
	v_mul_f64 v[57:58], v[2:3], v[31:32]
	v_add_f64 v[7:8], v[7:8], v[45:46]
	v_add_f64 v[15:16], v[15:16], v[47:48]
	s_waitcnt lgkmcnt(0)
	v_mul_f64 v[51:52], v[39:40], v[43:44]
	v_mul_f64 v[59:60], v[37:38], v[43:44]
	ds_read_b128 v[31:34], v6 offset:3072
	v_fma_f64 v[55:56], v[2:3], v[29:30], -v[55:56]
	v_fma_f64 v[29:30], v[4:5], v[29:30], v[57:58]
	v_add_f64 v[7:8], v[7:8], v[53:54]
	v_add_f64 v[15:16], v[15:16], v[35:36]
	ds_read_b128 v[2:5], v9 offset:96
	ds_read_b128 v[43:46], v6 offset:3584
	;; [unrolled: 1-line block ×3, first 2 shown]
	v_fma_f64 v[37:38], v[37:38], v[41:42], -v[51:52]
	v_fma_f64 v[39:40], v[39:40], v[41:42], v[59:60]
	v_add_nc_u32_e32 v6, 0x1000, v6
	s_waitcnt lgkmcnt(2)
	v_mul_f64 v[35:36], v[33:34], v[4:5]
	v_mul_f64 v[4:5], v[31:32], v[4:5]
	v_add_f64 v[7:8], v[7:8], v[55:56]
	v_add_f64 v[15:16], v[15:16], v[29:30]
	s_waitcnt lgkmcnt(0)
	v_mul_f64 v[29:30], v[45:46], v[49:50]
	v_mul_f64 v[41:42], v[43:44], v[49:50]
	v_fma_f64 v[31:32], v[31:32], v[2:3], -v[35:36]
	v_fma_f64 v[2:3], v[33:34], v[2:3], v[4:5]
	v_add_f64 v[4:5], v[7:8], v[37:38]
	v_add_f64 v[7:8], v[15:16], v[39:40]
	v_fma_f64 v[15:16], v[43:44], v[47:48], -v[29:30]
	v_fma_f64 v[29:30], v[45:46], v[47:48], v[41:42]
	v_add_f64 v[4:5], v[4:5], v[31:32]
	v_add_f64 v[7:8], v[7:8], v[2:3]
	;; [unrolled: 1-line block ×4, first 2 shown]
	s_cbranch_scc0 .LBB62_21
; %bb.22:                               ;   in Loop: Header=BB62_7 Depth=2
	flat_load_dwordx4 v[6:9], v[13:14]
	v_mul_f64 v[15:16], s[14:15], v[4:5]
	v_mul_f64 v[29:30], s[14:15], v[2:3]
	v_fma_f64 v[2:3], s[12:13], v[2:3], -v[15:16]
	v_fma_f64 v[4:5], s[12:13], v[4:5], v[29:30]
	s_waitcnt vmcnt(0) lgkmcnt(0)
	v_add_f64 v[2:3], v[2:3], v[6:7]
	v_add_f64 v[4:5], v[4:5], v[8:9]
	flat_store_dwordx4 v[13:14], v[2:5]
	s_branch .LBB62_6
.LBB62_23:
	s_endpgm
	.section	.rodata,"a",@progbits
	.p2align	6, 0x0
	.amdhsa_kernel _ZL24rocblas_symm_hemm_kernelILb1ELb0ELi32E19rocblas_complex_numIdEPKPKS1_PKPS1_EvbiiT2_T3_lllSA_lllT4_llli
		.amdhsa_group_segment_fixed_size 32768
		.amdhsa_private_segment_fixed_size 0
		.amdhsa_kernarg_size 392
		.amdhsa_user_sgpr_count 6
		.amdhsa_user_sgpr_private_segment_buffer 1
		.amdhsa_user_sgpr_dispatch_ptr 0
		.amdhsa_user_sgpr_queue_ptr 0
		.amdhsa_user_sgpr_kernarg_segment_ptr 1
		.amdhsa_user_sgpr_dispatch_id 0
		.amdhsa_user_sgpr_flat_scratch_init 0
		.amdhsa_user_sgpr_private_segment_size 0
		.amdhsa_wavefront_size32 1
		.amdhsa_uses_dynamic_stack 0
		.amdhsa_system_sgpr_private_segment_wavefront_offset 0
		.amdhsa_system_sgpr_workgroup_id_x 1
		.amdhsa_system_sgpr_workgroup_id_y 1
		.amdhsa_system_sgpr_workgroup_id_z 1
		.amdhsa_system_sgpr_workgroup_info 0
		.amdhsa_system_vgpr_workitem_id 1
		.amdhsa_next_free_vgpr 61
		.amdhsa_next_free_sgpr 30
		.amdhsa_reserve_vcc 1
		.amdhsa_reserve_flat_scratch 0
		.amdhsa_float_round_mode_32 0
		.amdhsa_float_round_mode_16_64 0
		.amdhsa_float_denorm_mode_32 3
		.amdhsa_float_denorm_mode_16_64 3
		.amdhsa_dx10_clamp 1
		.amdhsa_ieee_mode 1
		.amdhsa_fp16_overflow 0
		.amdhsa_workgroup_processor_mode 1
		.amdhsa_memory_ordered 1
		.amdhsa_forward_progress 1
		.amdhsa_shared_vgpr_count 0
		.amdhsa_exception_fp_ieee_invalid_op 0
		.amdhsa_exception_fp_denorm_src 0
		.amdhsa_exception_fp_ieee_div_zero 0
		.amdhsa_exception_fp_ieee_overflow 0
		.amdhsa_exception_fp_ieee_underflow 0
		.amdhsa_exception_fp_ieee_inexact 0
		.amdhsa_exception_int_div_zero 0
	.end_amdhsa_kernel
	.section	.text._ZL24rocblas_symm_hemm_kernelILb1ELb0ELi32E19rocblas_complex_numIdEPKPKS1_PKPS1_EvbiiT2_T3_lllSA_lllT4_llli,"axG",@progbits,_ZL24rocblas_symm_hemm_kernelILb1ELb0ELi32E19rocblas_complex_numIdEPKPKS1_PKPS1_EvbiiT2_T3_lllSA_lllT4_llli,comdat
.Lfunc_end62:
	.size	_ZL24rocblas_symm_hemm_kernelILb1ELb0ELi32E19rocblas_complex_numIdEPKPKS1_PKPS1_EvbiiT2_T3_lllSA_lllT4_llli, .Lfunc_end62-_ZL24rocblas_symm_hemm_kernelILb1ELb0ELi32E19rocblas_complex_numIdEPKPKS1_PKPS1_EvbiiT2_T3_lllSA_lllT4_llli
                                        ; -- End function
	.set _ZL24rocblas_symm_hemm_kernelILb1ELb0ELi32E19rocblas_complex_numIdEPKPKS1_PKPS1_EvbiiT2_T3_lllSA_lllT4_llli.num_vgpr, 61
	.set _ZL24rocblas_symm_hemm_kernelILb1ELb0ELi32E19rocblas_complex_numIdEPKPKS1_PKPS1_EvbiiT2_T3_lllSA_lllT4_llli.num_agpr, 0
	.set _ZL24rocblas_symm_hemm_kernelILb1ELb0ELi32E19rocblas_complex_numIdEPKPKS1_PKPS1_EvbiiT2_T3_lllSA_lllT4_llli.numbered_sgpr, 30
	.set _ZL24rocblas_symm_hemm_kernelILb1ELb0ELi32E19rocblas_complex_numIdEPKPKS1_PKPS1_EvbiiT2_T3_lllSA_lllT4_llli.num_named_barrier, 0
	.set _ZL24rocblas_symm_hemm_kernelILb1ELb0ELi32E19rocblas_complex_numIdEPKPKS1_PKPS1_EvbiiT2_T3_lllSA_lllT4_llli.private_seg_size, 0
	.set _ZL24rocblas_symm_hemm_kernelILb1ELb0ELi32E19rocblas_complex_numIdEPKPKS1_PKPS1_EvbiiT2_T3_lllSA_lllT4_llli.uses_vcc, 1
	.set _ZL24rocblas_symm_hemm_kernelILb1ELb0ELi32E19rocblas_complex_numIdEPKPKS1_PKPS1_EvbiiT2_T3_lllSA_lllT4_llli.uses_flat_scratch, 0
	.set _ZL24rocblas_symm_hemm_kernelILb1ELb0ELi32E19rocblas_complex_numIdEPKPKS1_PKPS1_EvbiiT2_T3_lllSA_lllT4_llli.has_dyn_sized_stack, 0
	.set _ZL24rocblas_symm_hemm_kernelILb1ELb0ELi32E19rocblas_complex_numIdEPKPKS1_PKPS1_EvbiiT2_T3_lllSA_lllT4_llli.has_recursion, 0
	.set _ZL24rocblas_symm_hemm_kernelILb1ELb0ELi32E19rocblas_complex_numIdEPKPKS1_PKPS1_EvbiiT2_T3_lllSA_lllT4_llli.has_indirect_call, 0
	.section	.AMDGPU.csdata,"",@progbits
; Kernel info:
; codeLenInByte = 1696
; TotalNumSgprs: 32
; NumVgprs: 61
; ScratchSize: 0
; MemoryBound: 1
; FloatMode: 240
; IeeeMode: 1
; LDSByteSize: 32768 bytes/workgroup (compile time only)
; SGPRBlocks: 0
; VGPRBlocks: 7
; NumSGPRsForWavesPerEU: 32
; NumVGPRsForWavesPerEU: 61
; Occupancy: 16
; WaveLimiterHint : 1
; COMPUTE_PGM_RSRC2:SCRATCH_EN: 0
; COMPUTE_PGM_RSRC2:USER_SGPR: 6
; COMPUTE_PGM_RSRC2:TRAP_HANDLER: 0
; COMPUTE_PGM_RSRC2:TGID_X_EN: 1
; COMPUTE_PGM_RSRC2:TGID_Y_EN: 1
; COMPUTE_PGM_RSRC2:TGID_Z_EN: 1
; COMPUTE_PGM_RSRC2:TIDIG_COMP_CNT: 1
	.section	.text._ZL24rocblas_symm_hemm_kernelILb1ELb1ELi32E19rocblas_complex_numIdEPKPKS1_PKPS1_EvbiiT2_T3_lllSA_lllT4_llli,"axG",@progbits,_ZL24rocblas_symm_hemm_kernelILb1ELb1ELi32E19rocblas_complex_numIdEPKPKS1_PKPS1_EvbiiT2_T3_lllSA_lllT4_llli,comdat
	.globl	_ZL24rocblas_symm_hemm_kernelILb1ELb1ELi32E19rocblas_complex_numIdEPKPKS1_PKPS1_EvbiiT2_T3_lllSA_lllT4_llli ; -- Begin function _ZL24rocblas_symm_hemm_kernelILb1ELb1ELi32E19rocblas_complex_numIdEPKPKS1_PKPS1_EvbiiT2_T3_lllSA_lllT4_llli
	.p2align	8
	.type	_ZL24rocblas_symm_hemm_kernelILb1ELb1ELi32E19rocblas_complex_numIdEPKPKS1_PKPS1_EvbiiT2_T3_lllSA_lllT4_llli,@function
_ZL24rocblas_symm_hemm_kernelILb1ELb1ELi32E19rocblas_complex_numIdEPKPKS1_PKPS1_EvbiiT2_T3_lllSA_lllT4_llli: ; @_ZL24rocblas_symm_hemm_kernelILb1ELb1ELi32E19rocblas_complex_numIdEPKPKS1_PKPS1_EvbiiT2_T3_lllSA_lllT4_llli
; %bb.0:
	s_load_dwordx8 s[12:19], s[4:5], 0x10
	s_waitcnt lgkmcnt(0)
	v_cmp_eq_f64_e64 s0, s[12:13], 0
	v_cmp_eq_f64_e64 s1, s[14:15], 0
	s_and_b32 s0, s0, s1
	s_and_b32 vcc_lo, exec_lo, s0
	s_cbranch_vccnz .LBB63_23
; %bb.1:
	s_load_dwordx4 s[20:23], s[4:5], 0x0
	s_waitcnt lgkmcnt(0)
	s_add_i32 s0, s22, -1
	s_ashr_i32 s1, s0, 31
	s_lshr_b32 s1, s1, 27
	s_add_i32 s0, s0, s1
	s_ashr_i32 s23, s0, 5
	s_cmp_gt_i32 s7, s23
	s_cbranch_scc1 .LBB63_23
; %bb.2:
	s_mov_b32 s9, 0
	v_lshl_add_u32 v2, s6, 5, v0
	s_lshl_b64 s[26:27], s[8:9], 3
	v_lshlrev_b32_e32 v4, 4, v1
	s_add_u32 s0, s16, s26
	s_addc_u32 s1, s17, s27
	s_lshl_b64 s[18:19], s[18:19], 4
	s_load_dwordx2 s[16:17], s[0:1], 0x0
	s_clause 0x1
	s_load_dwordx4 s[0:3], s[4:5], 0x40
	s_load_dwordx4 s[8:11], s[4:5], 0x60
	v_ashrrev_i32_e32 v3, 31, v2
	v_lshlrev_b32_e32 v17, 9, v0
	v_or_b32_e32 v19, 0x4000, v4
	v_add_nc_u32_e32 v18, v17, v4
	v_add_nc_u32_e32 v20, v19, v17
	s_waitcnt lgkmcnt(0)
	s_add_u32 s24, s16, s18
	s_addc_u32 s25, s17, s19
	s_add_u32 s0, s0, s26
	s_addc_u32 s1, s1, s27
	;; [unrolled: 2-line block ×3, first 2 shown]
	s_bitcmp1_b32 s20, 0
	s_load_dwordx2 s[26:27], s[8:9], 0x0
	s_load_dwordx2 s[28:29], s[0:1], 0x0
	s_clause 0x3
	s_load_dwordx2 s[8:9], s[4:5], 0x30
	s_load_dwordx2 s[16:17], s[4:5], 0x50
	;; [unrolled: 1-line block ×3, first 2 shown]
	s_load_dword s4, s[4:5], 0x8c
	v_cmp_gt_i32_e64 s0, s21, v2
	v_lshlrev_b64 v[2:3], 4, v[2:3]
	s_cselect_b32 s1, -1, 0
	s_lshl_b64 s[10:11], s[10:11], 4
	s_waitcnt lgkmcnt(0)
	s_add_u32 s5, s26, s10
	s_addc_u32 s6, s27, s11
	s_lshl_b64 s[2:3], s[2:3], 4
	v_add_co_u32 v21, vcc_lo, s5, v2
	s_add_u32 s2, s28, s2
	v_add_co_ci_u32_e64 v22, null, s6, v3, vcc_lo
	s_addc_u32 s3, s29, s3
	v_add_co_u32 v23, vcc_lo, s2, v2
	v_add_co_ci_u32_e64 v24, null, s3, v3, vcc_lo
	s_cmp_gt_i32 s22, 0
	s_cselect_b32 s3, -1, 0
	s_branch .LBB63_4
.LBB63_3:                               ;   in Loop: Header=BB63_4 Depth=1
	s_add_i32 s7, s7, s4
	s_cmp_gt_i32 s7, s23
	s_cbranch_scc1 .LBB63_23
.LBB63_4:                               ; =>This Loop Header: Depth=1
                                        ;     Child Loop BB63_7 Depth 2
                                        ;       Child Loop BB63_21 Depth 3
	s_andn2_b32 vcc_lo, exec_lo, s3
	s_cbranch_vccnz .LBB63_3
; %bb.5:                                ;   in Loop: Header=BB63_4 Depth=1
	v_lshl_add_u32 v10, s7, 5, v1
	s_mov_b32 s6, 0
	v_ashrrev_i32_e32 v11, 31, v10
	v_mul_lo_u32 v6, s9, v10
	v_mad_u64_u32 v[2:3], null, s8, v10, 0
	v_mul_lo_u32 v8, s19, v10
	v_mul_lo_u32 v7, s8, v11
	v_mad_u64_u32 v[4:5], null, s18, v10, 0
	v_mul_lo_u32 v9, s18, v11
	v_cmp_gt_i32_e32 vcc_lo, s22, v10
	v_add3_u32 v3, v3, v7, v6
	v_lshlrev_b64 v[6:7], 4, v[10:11]
	s_and_b32 s5, s0, vcc_lo
	v_add3_u32 v5, v5, v9, v8
	v_lshlrev_b64 v[2:3], 4, v[2:3]
	v_add_co_u32 v25, s2, s24, v6
	v_lshlrev_b64 v[4:5], 4, v[4:5]
	v_add_co_ci_u32_e64 v26, null, s25, v7, s2
	v_add_co_u32 v27, s2, s24, v2
	v_add_co_ci_u32_e64 v28, null, s25, v3, s2
	v_add_co_u32 v11, s2, v21, v4
	;; [unrolled: 2-line block ×3, first 2 shown]
	v_add_co_ci_u32_e64 v14, null, v28, v7, s2
	s_branch .LBB63_7
.LBB63_6:                               ;   in Loop: Header=BB63_7 Depth=2
	s_or_b32 exec_lo, exec_lo, s2
	s_add_i32 s6, s6, 32
	s_waitcnt lgkmcnt(0)
	s_waitcnt_vscnt null, 0x0
	s_cmp_ge_i32 s6, s22
	s_barrier
	buffer_gl0_inv
	s_cbranch_scc1 .LBB63_3
.LBB63_7:                               ;   Parent Loop BB63_4 Depth=1
                                        ; =>  This Loop Header: Depth=2
                                        ;       Child Loop BB63_21 Depth 3
	v_add_nc_u32_e32 v4, s6, v1
	v_mov_b32_e32 v2, 0
	v_mov_b32_e32 v6, 0
	;; [unrolled: 1-line block ×4, first 2 shown]
	v_cmp_gt_i32_e32 vcc_lo, s22, v4
	v_mov_b32_e32 v7, 0
	v_mov_b32_e32 v9, 0
	s_and_b32 s10, s0, vcc_lo
	s_and_saveexec_b32 s2, s10
	s_cbranch_execz .LBB63_9
; %bb.8:                                ;   in Loop: Header=BB63_7 Depth=2
	v_ashrrev_i32_e32 v6, 31, v4
	v_mul_lo_u32 v7, s17, v4
	v_mad_u64_u32 v[4:5], null, s16, v4, 0
	v_mul_lo_u32 v6, s16, v6
	v_add3_u32 v5, v5, v6, v7
	v_lshlrev_b64 v[4:5], 4, v[4:5]
	v_add_co_u32 v4, vcc_lo, v23, v4
	v_add_co_ci_u32_e64 v5, null, v24, v5, vcc_lo
	flat_load_dwordx4 v[6:9], v[4:5]
.LBB63_9:                               ;   in Loop: Header=BB63_7 Depth=2
	s_or_b32 exec_lo, exec_lo, s2
	v_add_nc_u32_e32 v15, s6, v0
	s_mov_b32 s10, exec_lo
	s_waitcnt vmcnt(0) lgkmcnt(0)
	ds_write_b128 v18, v[6:9]
	v_cndmask_b32_e64 v4, v10, v15, s1
	v_cndmask_b32_e64 v5, v15, v10, s1
	v_cmp_gt_i32_e32 vcc_lo, v4, v5
	v_cndmask_b32_e32 v16, v15, v10, vcc_lo
	v_cndmask_b32_e32 v29, v10, v15, vcc_lo
	v_cmp_le_i32_e32 vcc_lo, v4, v5
	v_mov_b32_e32 v4, 0
	v_mov_b32_e32 v5, 0
	v_max_i32_e32 v16, v16, v29
	v_cmpx_gt_i32_e64 s22, v16
	s_cbranch_execz .LBB63_19
; %bb.10:                               ;   in Loop: Header=BB63_7 Depth=2
                                        ; implicit-def: $vgpr4_vgpr5
	s_and_saveexec_b32 s2, vcc_lo
	s_xor_b32 s2, exec_lo, s2
	s_cbranch_execz .LBB63_16
; %bb.11:                               ;   in Loop: Header=BB63_7 Depth=2
	s_mov_b32 s11, exec_lo
                                        ; implicit-def: $vgpr4_vgpr5
	v_cmpx_ne_u32_e64 v15, v10
	s_xor_b32 s11, exec_lo, s11
	s_cbranch_execz .LBB63_13
; %bb.12:                               ;   in Loop: Header=BB63_7 Depth=2
	v_ashrrev_i32_e32 v16, 31, v15
	v_lshlrev_b64 v[2:3], 4, v[15:16]
	v_add_co_u32 v2, vcc_lo, v27, v2
	v_add_co_ci_u32_e64 v3, null, v28, v3, vcc_lo
	flat_load_dwordx4 v[2:5], v[2:3]
.LBB63_13:                              ;   in Loop: Header=BB63_7 Depth=2
	s_andn2_saveexec_b32 s11, s11
	s_cbranch_execz .LBB63_15
; %bb.14:                               ;   in Loop: Header=BB63_7 Depth=2
	s_waitcnt vmcnt(0) lgkmcnt(0)
	flat_load_dwordx2 v[2:3], v[13:14]
	v_mov_b32_e32 v4, 0
	v_mov_b32_e32 v5, 0
.LBB63_15:                              ;   in Loop: Header=BB63_7 Depth=2
	s_or_b32 exec_lo, exec_lo, s11
                                        ; implicit-def: $vgpr15
.LBB63_16:                              ;   in Loop: Header=BB63_7 Depth=2
	s_andn2_saveexec_b32 s2, s2
	s_cbranch_execz .LBB63_18
; %bb.17:                               ;   in Loop: Header=BB63_7 Depth=2
	s_waitcnt vmcnt(0) lgkmcnt(0)
	v_ashrrev_i32_e32 v4, 31, v15
	v_mul_lo_u32 v5, s9, v15
	v_mad_u64_u32 v[2:3], null, s8, v15, 0
	v_mul_lo_u32 v4, s8, v4
	v_add3_u32 v3, v3, v4, v5
	v_lshlrev_b64 v[2:3], 4, v[2:3]
	v_add_co_u32 v2, vcc_lo, v25, v2
	v_add_co_ci_u32_e64 v3, null, v26, v3, vcc_lo
	flat_load_dwordx4 v[2:5], v[2:3]
	s_waitcnt vmcnt(0) lgkmcnt(0)
	v_xor_b32_e32 v5, 0x80000000, v5
.LBB63_18:                              ;   in Loop: Header=BB63_7 Depth=2
	s_or_b32 exec_lo, exec_lo, s2
.LBB63_19:                              ;   in Loop: Header=BB63_7 Depth=2
	s_or_b32 exec_lo, exec_lo, s10
	s_waitcnt vmcnt(0) lgkmcnt(0)
	ds_write_b128 v20, v[2:5]
	s_waitcnt lgkmcnt(0)
	s_barrier
	buffer_gl0_inv
	s_and_saveexec_b32 s2, s5
	s_cbranch_execz .LBB63_6
; %bb.20:                               ;   in Loop: Header=BB63_7 Depth=2
	v_mov_b32_e32 v2, 0
	v_mov_b32_e32 v4, 0
	;; [unrolled: 1-line block ×5, first 2 shown]
	s_mov_b32 s10, 0
.LBB63_21:                              ;   Parent Loop BB63_4 Depth=1
                                        ;     Parent Loop BB63_7 Depth=2
                                        ; =>    This Inner Loop Header: Depth=3
	v_add_nc_u32_e32 v9, s10, v17
	s_addk_i32 s10, 0x80
	ds_read_b128 v[29:32], v6
	ds_read_b128 v[33:36], v9
	ds_read_b128 v[37:40], v6 offset:512
	ds_read_b128 v[41:44], v9 offset:16
	ds_read_b128 v[45:48], v6 offset:1024
	s_cmpk_eq_i32 s10, 0x200
	s_waitcnt lgkmcnt(3)
	v_mul_f64 v[7:8], v[31:32], v[35:36]
	v_mul_f64 v[15:16], v[29:30], v[35:36]
	s_waitcnt lgkmcnt(1)
	v_mul_f64 v[53:54], v[39:40], v[43:44]
	v_mul_f64 v[43:44], v[37:38], v[43:44]
	v_fma_f64 v[7:8], v[29:30], v[33:34], -v[7:8]
	v_fma_f64 v[15:16], v[31:32], v[33:34], v[15:16]
	ds_read_b128 v[29:32], v9 offset:32
	ds_read_b128 v[33:36], v6 offset:1536
	;; [unrolled: 1-line block ×3, first 2 shown]
	v_fma_f64 v[37:38], v[37:38], v[41:42], -v[53:54]
	v_fma_f64 v[39:40], v[39:40], v[41:42], v[43:44]
	s_waitcnt lgkmcnt(2)
	v_mul_f64 v[55:56], v[47:48], v[31:32]
	v_mul_f64 v[31:32], v[45:46], v[31:32]
	v_add_f64 v[7:8], v[2:3], v[7:8]
	v_add_f64 v[15:16], v[4:5], v[15:16]
	s_waitcnt lgkmcnt(0)
	v_mul_f64 v[53:54], v[35:36], v[51:52]
	v_mul_f64 v[51:52], v[33:34], v[51:52]
	ds_read_b128 v[2:5], v6 offset:2048
	v_fma_f64 v[45:46], v[45:46], v[29:30], -v[55:56]
	v_fma_f64 v[47:48], v[47:48], v[29:30], v[31:32]
	v_add_f64 v[7:8], v[7:8], v[37:38]
	v_add_f64 v[15:16], v[15:16], v[39:40]
	ds_read_b128 v[29:32], v9 offset:64
	ds_read_b128 v[37:40], v6 offset:2560
	;; [unrolled: 1-line block ×3, first 2 shown]
	v_fma_f64 v[53:54], v[33:34], v[49:50], -v[53:54]
	v_fma_f64 v[35:36], v[35:36], v[49:50], v[51:52]
	s_waitcnt lgkmcnt(2)
	v_mul_f64 v[55:56], v[4:5], v[31:32]
	v_mul_f64 v[57:58], v[2:3], v[31:32]
	v_add_f64 v[7:8], v[7:8], v[45:46]
	v_add_f64 v[15:16], v[15:16], v[47:48]
	s_waitcnt lgkmcnt(0)
	v_mul_f64 v[51:52], v[39:40], v[43:44]
	v_mul_f64 v[59:60], v[37:38], v[43:44]
	ds_read_b128 v[31:34], v6 offset:3072
	v_fma_f64 v[55:56], v[2:3], v[29:30], -v[55:56]
	v_fma_f64 v[29:30], v[4:5], v[29:30], v[57:58]
	v_add_f64 v[7:8], v[7:8], v[53:54]
	v_add_f64 v[15:16], v[15:16], v[35:36]
	ds_read_b128 v[2:5], v9 offset:96
	ds_read_b128 v[43:46], v6 offset:3584
	;; [unrolled: 1-line block ×3, first 2 shown]
	v_fma_f64 v[37:38], v[37:38], v[41:42], -v[51:52]
	v_fma_f64 v[39:40], v[39:40], v[41:42], v[59:60]
	v_add_nc_u32_e32 v6, 0x1000, v6
	s_waitcnt lgkmcnt(2)
	v_mul_f64 v[35:36], v[33:34], v[4:5]
	v_mul_f64 v[4:5], v[31:32], v[4:5]
	v_add_f64 v[7:8], v[7:8], v[55:56]
	v_add_f64 v[15:16], v[15:16], v[29:30]
	s_waitcnt lgkmcnt(0)
	v_mul_f64 v[29:30], v[45:46], v[49:50]
	v_mul_f64 v[41:42], v[43:44], v[49:50]
	v_fma_f64 v[31:32], v[31:32], v[2:3], -v[35:36]
	v_fma_f64 v[2:3], v[33:34], v[2:3], v[4:5]
	v_add_f64 v[4:5], v[7:8], v[37:38]
	v_add_f64 v[7:8], v[15:16], v[39:40]
	v_fma_f64 v[15:16], v[43:44], v[47:48], -v[29:30]
	v_fma_f64 v[29:30], v[45:46], v[47:48], v[41:42]
	v_add_f64 v[4:5], v[4:5], v[31:32]
	v_add_f64 v[7:8], v[7:8], v[2:3]
	;; [unrolled: 1-line block ×4, first 2 shown]
	s_cbranch_scc0 .LBB63_21
; %bb.22:                               ;   in Loop: Header=BB63_7 Depth=2
	flat_load_dwordx4 v[6:9], v[11:12]
	v_mul_f64 v[15:16], s[14:15], v[4:5]
	v_mul_f64 v[29:30], s[14:15], v[2:3]
	v_fma_f64 v[2:3], s[12:13], v[2:3], -v[15:16]
	v_fma_f64 v[4:5], s[12:13], v[4:5], v[29:30]
	s_waitcnt vmcnt(0) lgkmcnt(0)
	v_add_f64 v[2:3], v[2:3], v[6:7]
	v_add_f64 v[4:5], v[4:5], v[8:9]
	flat_store_dwordx4 v[11:12], v[2:5]
	s_branch .LBB63_6
.LBB63_23:
	s_endpgm
	.section	.rodata,"a",@progbits
	.p2align	6, 0x0
	.amdhsa_kernel _ZL24rocblas_symm_hemm_kernelILb1ELb1ELi32E19rocblas_complex_numIdEPKPKS1_PKPS1_EvbiiT2_T3_lllSA_lllT4_llli
		.amdhsa_group_segment_fixed_size 32768
		.amdhsa_private_segment_fixed_size 0
		.amdhsa_kernarg_size 392
		.amdhsa_user_sgpr_count 6
		.amdhsa_user_sgpr_private_segment_buffer 1
		.amdhsa_user_sgpr_dispatch_ptr 0
		.amdhsa_user_sgpr_queue_ptr 0
		.amdhsa_user_sgpr_kernarg_segment_ptr 1
		.amdhsa_user_sgpr_dispatch_id 0
		.amdhsa_user_sgpr_flat_scratch_init 0
		.amdhsa_user_sgpr_private_segment_size 0
		.amdhsa_wavefront_size32 1
		.amdhsa_uses_dynamic_stack 0
		.amdhsa_system_sgpr_private_segment_wavefront_offset 0
		.amdhsa_system_sgpr_workgroup_id_x 1
		.amdhsa_system_sgpr_workgroup_id_y 1
		.amdhsa_system_sgpr_workgroup_id_z 1
		.amdhsa_system_sgpr_workgroup_info 0
		.amdhsa_system_vgpr_workitem_id 1
		.amdhsa_next_free_vgpr 61
		.amdhsa_next_free_sgpr 30
		.amdhsa_reserve_vcc 1
		.amdhsa_reserve_flat_scratch 0
		.amdhsa_float_round_mode_32 0
		.amdhsa_float_round_mode_16_64 0
		.amdhsa_float_denorm_mode_32 3
		.amdhsa_float_denorm_mode_16_64 3
		.amdhsa_dx10_clamp 1
		.amdhsa_ieee_mode 1
		.amdhsa_fp16_overflow 0
		.amdhsa_workgroup_processor_mode 1
		.amdhsa_memory_ordered 1
		.amdhsa_forward_progress 1
		.amdhsa_shared_vgpr_count 0
		.amdhsa_exception_fp_ieee_invalid_op 0
		.amdhsa_exception_fp_denorm_src 0
		.amdhsa_exception_fp_ieee_div_zero 0
		.amdhsa_exception_fp_ieee_overflow 0
		.amdhsa_exception_fp_ieee_underflow 0
		.amdhsa_exception_fp_ieee_inexact 0
		.amdhsa_exception_int_div_zero 0
	.end_amdhsa_kernel
	.section	.text._ZL24rocblas_symm_hemm_kernelILb1ELb1ELi32E19rocblas_complex_numIdEPKPKS1_PKPS1_EvbiiT2_T3_lllSA_lllT4_llli,"axG",@progbits,_ZL24rocblas_symm_hemm_kernelILb1ELb1ELi32E19rocblas_complex_numIdEPKPKS1_PKPS1_EvbiiT2_T3_lllSA_lllT4_llli,comdat
.Lfunc_end63:
	.size	_ZL24rocblas_symm_hemm_kernelILb1ELb1ELi32E19rocblas_complex_numIdEPKPKS1_PKPS1_EvbiiT2_T3_lllSA_lllT4_llli, .Lfunc_end63-_ZL24rocblas_symm_hemm_kernelILb1ELb1ELi32E19rocblas_complex_numIdEPKPKS1_PKPS1_EvbiiT2_T3_lllSA_lllT4_llli
                                        ; -- End function
	.set _ZL24rocblas_symm_hemm_kernelILb1ELb1ELi32E19rocblas_complex_numIdEPKPKS1_PKPS1_EvbiiT2_T3_lllSA_lllT4_llli.num_vgpr, 61
	.set _ZL24rocblas_symm_hemm_kernelILb1ELb1ELi32E19rocblas_complex_numIdEPKPKS1_PKPS1_EvbiiT2_T3_lllSA_lllT4_llli.num_agpr, 0
	.set _ZL24rocblas_symm_hemm_kernelILb1ELb1ELi32E19rocblas_complex_numIdEPKPKS1_PKPS1_EvbiiT2_T3_lllSA_lllT4_llli.numbered_sgpr, 30
	.set _ZL24rocblas_symm_hemm_kernelILb1ELb1ELi32E19rocblas_complex_numIdEPKPKS1_PKPS1_EvbiiT2_T3_lllSA_lllT4_llli.num_named_barrier, 0
	.set _ZL24rocblas_symm_hemm_kernelILb1ELb1ELi32E19rocblas_complex_numIdEPKPKS1_PKPS1_EvbiiT2_T3_lllSA_lllT4_llli.private_seg_size, 0
	.set _ZL24rocblas_symm_hemm_kernelILb1ELb1ELi32E19rocblas_complex_numIdEPKPKS1_PKPS1_EvbiiT2_T3_lllSA_lllT4_llli.uses_vcc, 1
	.set _ZL24rocblas_symm_hemm_kernelILb1ELb1ELi32E19rocblas_complex_numIdEPKPKS1_PKPS1_EvbiiT2_T3_lllSA_lllT4_llli.uses_flat_scratch, 0
	.set _ZL24rocblas_symm_hemm_kernelILb1ELb1ELi32E19rocblas_complex_numIdEPKPKS1_PKPS1_EvbiiT2_T3_lllSA_lllT4_llli.has_dyn_sized_stack, 0
	.set _ZL24rocblas_symm_hemm_kernelILb1ELb1ELi32E19rocblas_complex_numIdEPKPKS1_PKPS1_EvbiiT2_T3_lllSA_lllT4_llli.has_recursion, 0
	.set _ZL24rocblas_symm_hemm_kernelILb1ELb1ELi32E19rocblas_complex_numIdEPKPKS1_PKPS1_EvbiiT2_T3_lllSA_lllT4_llli.has_indirect_call, 0
	.section	.AMDGPU.csdata,"",@progbits
; Kernel info:
; codeLenInByte = 1672
; TotalNumSgprs: 32
; NumVgprs: 61
; ScratchSize: 0
; MemoryBound: 1
; FloatMode: 240
; IeeeMode: 1
; LDSByteSize: 32768 bytes/workgroup (compile time only)
; SGPRBlocks: 0
; VGPRBlocks: 7
; NumSGPRsForWavesPerEU: 32
; NumVGPRsForWavesPerEU: 61
; Occupancy: 16
; WaveLimiterHint : 1
; COMPUTE_PGM_RSRC2:SCRATCH_EN: 0
; COMPUTE_PGM_RSRC2:USER_SGPR: 6
; COMPUTE_PGM_RSRC2:TRAP_HANDLER: 0
; COMPUTE_PGM_RSRC2:TGID_X_EN: 1
; COMPUTE_PGM_RSRC2:TGID_Y_EN: 1
; COMPUTE_PGM_RSRC2:TGID_Z_EN: 1
; COMPUTE_PGM_RSRC2:TIDIG_COMP_CNT: 1
	.section	.AMDGPU.gpr_maximums,"",@progbits
	.set amdgpu.max_num_vgpr, 0
	.set amdgpu.max_num_agpr, 0
	.set amdgpu.max_num_sgpr, 0
	.section	.AMDGPU.csdata,"",@progbits
	.type	__hip_cuid_7a598e7f5961bf64,@object ; @__hip_cuid_7a598e7f5961bf64
	.section	.bss,"aw",@nobits
	.globl	__hip_cuid_7a598e7f5961bf64
__hip_cuid_7a598e7f5961bf64:
	.byte	0                               ; 0x0
	.size	__hip_cuid_7a598e7f5961bf64, 1

	.ident	"AMD clang version 22.0.0git (https://github.com/RadeonOpenCompute/llvm-project roc-7.2.4 26084 f58b06dce1f9c15707c5f808fd002e18c2accf7e)"
	.section	".note.GNU-stack","",@progbits
	.addrsig
	.addrsig_sym __hip_cuid_7a598e7f5961bf64
	.amdgpu_metadata
---
amdhsa.kernels:
  - .args:
      - .offset:         0
        .size:           4
        .value_kind:     by_value
      - .offset:         4
        .size:           4
        .value_kind:     by_value
      - .address_space:  global
        .offset:         8
        .size:           8
        .value_kind:     global_buffer
      - .address_space:  global
        .offset:         16
        .size:           8
        .value_kind:     global_buffer
      - .offset:         24
        .size:           8
        .value_kind:     by_value
      - .offset:         32
        .size:           8
        .value_kind:     by_value
      - .offset:         40
        .size:           8
        .value_kind:     by_value
      - .offset:         48
        .size:           4
        .value_kind:     by_value
      - .offset:         56
        .size:           4
        .value_kind:     hidden_block_count_x
      - .offset:         60
        .size:           4
        .value_kind:     hidden_block_count_y
      - .offset:         64
        .size:           4
        .value_kind:     hidden_block_count_z
      - .offset:         68
        .size:           2
        .value_kind:     hidden_group_size_x
      - .offset:         70
        .size:           2
        .value_kind:     hidden_group_size_y
      - .offset:         72
        .size:           2
        .value_kind:     hidden_group_size_z
      - .offset:         74
        .size:           2
        .value_kind:     hidden_remainder_x
      - .offset:         76
        .size:           2
        .value_kind:     hidden_remainder_y
      - .offset:         78
        .size:           2
        .value_kind:     hidden_remainder_z
      - .offset:         96
        .size:           8
        .value_kind:     hidden_global_offset_x
      - .offset:         104
        .size:           8
        .value_kind:     hidden_global_offset_y
      - .offset:         112
        .size:           8
        .value_kind:     hidden_global_offset_z
      - .offset:         120
        .size:           2
        .value_kind:     hidden_grid_dims
    .group_segment_fixed_size: 0
    .kernarg_segment_align: 8
    .kernarg_segment_size: 312
    .language:       OpenCL C
    .language_version:
      - 2
      - 0
    .max_flat_workgroup_size: 1024
    .name:           _ZL25rocblas_symm_scale_kernelILi128ELi8EPKfPfEviiT1_T2_llli
    .private_segment_fixed_size: 0
    .sgpr_count:     22
    .sgpr_spill_count: 0
    .symbol:         _ZL25rocblas_symm_scale_kernelILi128ELi8EPKfPfEviiT1_T2_llli.kd
    .uniform_work_group_size: 1
    .uses_dynamic_stack: false
    .vgpr_count:     8
    .vgpr_spill_count: 0
    .wavefront_size: 32
    .workgroup_processor_mode: 1
  - .args:
      - .offset:         0
        .size:           1
        .value_kind:     by_value
      - .offset:         4
        .size:           4
        .value_kind:     by_value
      - .offset:         8
        .size:           4
        .value_kind:     by_value
      - .address_space:  global
        .offset:         16
        .size:           8
        .value_kind:     global_buffer
      - .address_space:  global
        .offset:         24
        .size:           8
        .value_kind:     global_buffer
      - .offset:         32
        .size:           8
        .value_kind:     by_value
      - .offset:         40
        .size:           8
        .value_kind:     by_value
      - .offset:         48
        .size:           8
        .value_kind:     by_value
      - .address_space:  global
        .offset:         56
        .size:           8
        .value_kind:     global_buffer
      - .offset:         64
        .size:           8
        .value_kind:     by_value
      - .offset:         72
        .size:           8
        .value_kind:     by_value
      - .offset:         80
        .size:           8
        .value_kind:     by_value
      - .address_space:  global
        .offset:         88
        .size:           8
        .value_kind:     global_buffer
      - .offset:         96
        .size:           8
        .value_kind:     by_value
      - .offset:         104
        .size:           8
        .value_kind:     by_value
      - .offset:         112
        .size:           8
        .value_kind:     by_value
      - .offset:         120
        .size:           4
        .value_kind:     by_value
      - .offset:         128
        .size:           4
        .value_kind:     hidden_block_count_x
      - .offset:         132
        .size:           4
        .value_kind:     hidden_block_count_y
      - .offset:         136
        .size:           4
        .value_kind:     hidden_block_count_z
      - .offset:         140
        .size:           2
        .value_kind:     hidden_group_size_x
      - .offset:         142
        .size:           2
        .value_kind:     hidden_group_size_y
      - .offset:         144
        .size:           2
        .value_kind:     hidden_group_size_z
      - .offset:         146
        .size:           2
        .value_kind:     hidden_remainder_x
      - .offset:         148
        .size:           2
        .value_kind:     hidden_remainder_y
      - .offset:         150
        .size:           2
        .value_kind:     hidden_remainder_z
      - .offset:         168
        .size:           8
        .value_kind:     hidden_global_offset_x
      - .offset:         176
        .size:           8
        .value_kind:     hidden_global_offset_y
      - .offset:         184
        .size:           8
        .value_kind:     hidden_global_offset_z
      - .offset:         192
        .size:           2
        .value_kind:     hidden_grid_dims
    .group_segment_fixed_size: 8192
    .kernarg_segment_align: 8
    .kernarg_segment_size: 384
    .language:       OpenCL C
    .language_version:
      - 2
      - 0
    .max_flat_workgroup_size: 1024
    .name:           _ZL24rocblas_symm_hemm_kernelILb0ELb0ELi32EPKfS1_PfEvbiiT2_T3_lllS4_lllT4_llli
    .private_segment_fixed_size: 0
    .sgpr_count:     46
    .sgpr_spill_count: 0
    .symbol:         _ZL24rocblas_symm_hemm_kernelILb0ELb0ELi32EPKfS1_PfEvbiiT2_T3_lllS4_lllT4_llli.kd
    .uniform_work_group_size: 1
    .uses_dynamic_stack: false
    .vgpr_count:     32
    .vgpr_spill_count: 0
    .wavefront_size: 32
    .workgroup_processor_mode: 1
  - .args:
      - .offset:         0
        .size:           1
        .value_kind:     by_value
      - .offset:         4
        .size:           4
        .value_kind:     by_value
      - .offset:         8
        .size:           4
        .value_kind:     by_value
      - .address_space:  global
        .offset:         16
        .size:           8
        .value_kind:     global_buffer
      - .address_space:  global
        .offset:         24
        .size:           8
        .value_kind:     global_buffer
      - .offset:         32
        .size:           8
        .value_kind:     by_value
      - .offset:         40
        .size:           8
        .value_kind:     by_value
      - .offset:         48
        .size:           8
        .value_kind:     by_value
      - .address_space:  global
        .offset:         56
        .size:           8
        .value_kind:     global_buffer
      - .offset:         64
        .size:           8
        .value_kind:     by_value
      - .offset:         72
        .size:           8
        .value_kind:     by_value
      - .offset:         80
        .size:           8
        .value_kind:     by_value
      - .address_space:  global
        .offset:         88
        .size:           8
        .value_kind:     global_buffer
      - .offset:         96
        .size:           8
        .value_kind:     by_value
      - .offset:         104
        .size:           8
        .value_kind:     by_value
      - .offset:         112
        .size:           8
        .value_kind:     by_value
      - .offset:         120
        .size:           4
        .value_kind:     by_value
      - .offset:         128
        .size:           4
        .value_kind:     hidden_block_count_x
      - .offset:         132
        .size:           4
        .value_kind:     hidden_block_count_y
      - .offset:         136
        .size:           4
        .value_kind:     hidden_block_count_z
      - .offset:         140
        .size:           2
        .value_kind:     hidden_group_size_x
      - .offset:         142
        .size:           2
        .value_kind:     hidden_group_size_y
      - .offset:         144
        .size:           2
        .value_kind:     hidden_group_size_z
      - .offset:         146
        .size:           2
        .value_kind:     hidden_remainder_x
      - .offset:         148
        .size:           2
        .value_kind:     hidden_remainder_y
      - .offset:         150
        .size:           2
        .value_kind:     hidden_remainder_z
      - .offset:         168
        .size:           8
        .value_kind:     hidden_global_offset_x
      - .offset:         176
        .size:           8
        .value_kind:     hidden_global_offset_y
      - .offset:         184
        .size:           8
        .value_kind:     hidden_global_offset_z
      - .offset:         192
        .size:           2
        .value_kind:     hidden_grid_dims
    .group_segment_fixed_size: 8192
    .kernarg_segment_align: 8
    .kernarg_segment_size: 384
    .language:       OpenCL C
    .language_version:
      - 2
      - 0
    .max_flat_workgroup_size: 1024
    .name:           _ZL24rocblas_symm_hemm_kernelILb0ELb1ELi32EPKfS1_PfEvbiiT2_T3_lllS4_lllT4_llli
    .private_segment_fixed_size: 0
    .sgpr_count:     46
    .sgpr_spill_count: 0
    .symbol:         _ZL24rocblas_symm_hemm_kernelILb0ELb1ELi32EPKfS1_PfEvbiiT2_T3_lllS4_lllT4_llli.kd
    .uniform_work_group_size: 1
    .uses_dynamic_stack: false
    .vgpr_count:     32
    .vgpr_spill_count: 0
    .wavefront_size: 32
    .workgroup_processor_mode: 1
  - .args:
      - .offset:         0
        .size:           4
        .value_kind:     by_value
      - .offset:         4
        .size:           4
        .value_kind:     by_value
      - .offset:         8
        .size:           4
        .value_kind:     by_value
      - .address_space:  global
        .offset:         16
        .size:           8
        .value_kind:     global_buffer
      - .offset:         24
        .size:           8
        .value_kind:     by_value
      - .offset:         32
        .size:           8
        .value_kind:     by_value
      - .offset:         40
        .size:           8
        .value_kind:     by_value
      - .offset:         48
        .size:           4
        .value_kind:     by_value
      - .offset:         56
        .size:           4
        .value_kind:     hidden_block_count_x
      - .offset:         60
        .size:           4
        .value_kind:     hidden_block_count_y
      - .offset:         64
        .size:           4
        .value_kind:     hidden_block_count_z
      - .offset:         68
        .size:           2
        .value_kind:     hidden_group_size_x
      - .offset:         70
        .size:           2
        .value_kind:     hidden_group_size_y
      - .offset:         72
        .size:           2
        .value_kind:     hidden_group_size_z
      - .offset:         74
        .size:           2
        .value_kind:     hidden_remainder_x
      - .offset:         76
        .size:           2
        .value_kind:     hidden_remainder_y
      - .offset:         78
        .size:           2
        .value_kind:     hidden_remainder_z
      - .offset:         96
        .size:           8
        .value_kind:     hidden_global_offset_x
      - .offset:         104
        .size:           8
        .value_kind:     hidden_global_offset_y
      - .offset:         112
        .size:           8
        .value_kind:     hidden_global_offset_z
      - .offset:         120
        .size:           2
        .value_kind:     hidden_grid_dims
    .group_segment_fixed_size: 0
    .kernarg_segment_align: 8
    .kernarg_segment_size: 312
    .language:       OpenCL C
    .language_version:
      - 2
      - 0
    .max_flat_workgroup_size: 1024
    .name:           _ZL25rocblas_symm_scale_kernelILi128ELi8EfPfEviiT1_T2_llli
    .private_segment_fixed_size: 0
    .sgpr_count:     22
    .sgpr_spill_count: 0
    .symbol:         _ZL25rocblas_symm_scale_kernelILi128ELi8EfPfEviiT1_T2_llli.kd
    .uniform_work_group_size: 1
    .uses_dynamic_stack: false
    .vgpr_count:     8
    .vgpr_spill_count: 0
    .wavefront_size: 32
    .workgroup_processor_mode: 1
  - .args:
      - .offset:         0
        .size:           1
        .value_kind:     by_value
      - .offset:         4
        .size:           4
        .value_kind:     by_value
      - .offset:         8
        .size:           4
        .value_kind:     by_value
      - .offset:         12
        .size:           4
        .value_kind:     by_value
      - .address_space:  global
        .offset:         16
        .size:           8
        .value_kind:     global_buffer
      - .offset:         24
        .size:           8
        .value_kind:     by_value
      - .offset:         32
        .size:           8
        .value_kind:     by_value
      - .offset:         40
        .size:           8
        .value_kind:     by_value
      - .address_space:  global
        .offset:         48
        .size:           8
        .value_kind:     global_buffer
      - .offset:         56
        .size:           8
        .value_kind:     by_value
      - .offset:         64
        .size:           8
        .value_kind:     by_value
      - .offset:         72
        .size:           8
        .value_kind:     by_value
      - .address_space:  global
        .offset:         80
        .size:           8
        .value_kind:     global_buffer
      - .offset:         88
        .size:           8
        .value_kind:     by_value
      - .offset:         96
        .size:           8
        .value_kind:     by_value
      - .offset:         104
        .size:           8
        .value_kind:     by_value
      - .offset:         112
        .size:           4
        .value_kind:     by_value
      - .offset:         120
        .size:           4
        .value_kind:     hidden_block_count_x
      - .offset:         124
        .size:           4
        .value_kind:     hidden_block_count_y
      - .offset:         128
        .size:           4
        .value_kind:     hidden_block_count_z
      - .offset:         132
        .size:           2
        .value_kind:     hidden_group_size_x
      - .offset:         134
        .size:           2
        .value_kind:     hidden_group_size_y
      - .offset:         136
        .size:           2
        .value_kind:     hidden_group_size_z
      - .offset:         138
        .size:           2
        .value_kind:     hidden_remainder_x
      - .offset:         140
        .size:           2
        .value_kind:     hidden_remainder_y
      - .offset:         142
        .size:           2
        .value_kind:     hidden_remainder_z
      - .offset:         160
        .size:           8
        .value_kind:     hidden_global_offset_x
      - .offset:         168
        .size:           8
        .value_kind:     hidden_global_offset_y
      - .offset:         176
        .size:           8
        .value_kind:     hidden_global_offset_z
      - .offset:         184
        .size:           2
        .value_kind:     hidden_grid_dims
    .group_segment_fixed_size: 8192
    .kernarg_segment_align: 8
    .kernarg_segment_size: 376
    .language:       OpenCL C
    .language_version:
      - 2
      - 0
    .max_flat_workgroup_size: 1024
    .name:           _ZL24rocblas_symm_hemm_kernelILb0ELb0ELi32EfPKfPfEvbiiT2_T3_lllS4_lllT4_llli
    .private_segment_fixed_size: 0
    .sgpr_count:     46
    .sgpr_spill_count: 0
    .symbol:         _ZL24rocblas_symm_hemm_kernelILb0ELb0ELi32EfPKfPfEvbiiT2_T3_lllS4_lllT4_llli.kd
    .uniform_work_group_size: 1
    .uses_dynamic_stack: false
    .vgpr_count:     32
    .vgpr_spill_count: 0
    .wavefront_size: 32
    .workgroup_processor_mode: 1
  - .args:
      - .offset:         0
        .size:           1
        .value_kind:     by_value
      - .offset:         4
        .size:           4
        .value_kind:     by_value
      - .offset:         8
        .size:           4
        .value_kind:     by_value
      - .offset:         12
        .size:           4
        .value_kind:     by_value
      - .address_space:  global
        .offset:         16
        .size:           8
        .value_kind:     global_buffer
      - .offset:         24
        .size:           8
        .value_kind:     by_value
      - .offset:         32
        .size:           8
        .value_kind:     by_value
      - .offset:         40
        .size:           8
        .value_kind:     by_value
      - .address_space:  global
        .offset:         48
        .size:           8
        .value_kind:     global_buffer
      - .offset:         56
        .size:           8
        .value_kind:     by_value
      - .offset:         64
        .size:           8
        .value_kind:     by_value
      - .offset:         72
        .size:           8
        .value_kind:     by_value
      - .address_space:  global
        .offset:         80
        .size:           8
        .value_kind:     global_buffer
      - .offset:         88
        .size:           8
        .value_kind:     by_value
      - .offset:         96
        .size:           8
        .value_kind:     by_value
      - .offset:         104
        .size:           8
        .value_kind:     by_value
      - .offset:         112
        .size:           4
        .value_kind:     by_value
      - .offset:         120
        .size:           4
        .value_kind:     hidden_block_count_x
      - .offset:         124
        .size:           4
        .value_kind:     hidden_block_count_y
      - .offset:         128
        .size:           4
        .value_kind:     hidden_block_count_z
      - .offset:         132
        .size:           2
        .value_kind:     hidden_group_size_x
      - .offset:         134
        .size:           2
        .value_kind:     hidden_group_size_y
      - .offset:         136
        .size:           2
        .value_kind:     hidden_group_size_z
      - .offset:         138
        .size:           2
        .value_kind:     hidden_remainder_x
      - .offset:         140
        .size:           2
        .value_kind:     hidden_remainder_y
      - .offset:         142
        .size:           2
        .value_kind:     hidden_remainder_z
      - .offset:         160
        .size:           8
        .value_kind:     hidden_global_offset_x
      - .offset:         168
        .size:           8
        .value_kind:     hidden_global_offset_y
      - .offset:         176
        .size:           8
        .value_kind:     hidden_global_offset_z
      - .offset:         184
        .size:           2
        .value_kind:     hidden_grid_dims
    .group_segment_fixed_size: 8192
    .kernarg_segment_align: 8
    .kernarg_segment_size: 376
    .language:       OpenCL C
    .language_version:
      - 2
      - 0
    .max_flat_workgroup_size: 1024
    .name:           _ZL24rocblas_symm_hemm_kernelILb0ELb1ELi32EfPKfPfEvbiiT2_T3_lllS4_lllT4_llli
    .private_segment_fixed_size: 0
    .sgpr_count:     46
    .sgpr_spill_count: 0
    .symbol:         _ZL24rocblas_symm_hemm_kernelILb0ELb1ELi32EfPKfPfEvbiiT2_T3_lllS4_lllT4_llli.kd
    .uniform_work_group_size: 1
    .uses_dynamic_stack: false
    .vgpr_count:     32
    .vgpr_spill_count: 0
    .wavefront_size: 32
    .workgroup_processor_mode: 1
  - .args:
      - .offset:         0
        .size:           4
        .value_kind:     by_value
      - .offset:         4
        .size:           4
        .value_kind:     by_value
      - .address_space:  global
        .offset:         8
        .size:           8
        .value_kind:     global_buffer
      - .address_space:  global
        .offset:         16
        .size:           8
        .value_kind:     global_buffer
      - .offset:         24
        .size:           8
        .value_kind:     by_value
      - .offset:         32
        .size:           8
        .value_kind:     by_value
      - .offset:         40
        .size:           8
        .value_kind:     by_value
      - .offset:         48
        .size:           4
        .value_kind:     by_value
      - .offset:         56
        .size:           4
        .value_kind:     hidden_block_count_x
      - .offset:         60
        .size:           4
        .value_kind:     hidden_block_count_y
      - .offset:         64
        .size:           4
        .value_kind:     hidden_block_count_z
      - .offset:         68
        .size:           2
        .value_kind:     hidden_group_size_x
      - .offset:         70
        .size:           2
        .value_kind:     hidden_group_size_y
      - .offset:         72
        .size:           2
        .value_kind:     hidden_group_size_z
      - .offset:         74
        .size:           2
        .value_kind:     hidden_remainder_x
      - .offset:         76
        .size:           2
        .value_kind:     hidden_remainder_y
      - .offset:         78
        .size:           2
        .value_kind:     hidden_remainder_z
      - .offset:         96
        .size:           8
        .value_kind:     hidden_global_offset_x
      - .offset:         104
        .size:           8
        .value_kind:     hidden_global_offset_y
      - .offset:         112
        .size:           8
        .value_kind:     hidden_global_offset_z
      - .offset:         120
        .size:           2
        .value_kind:     hidden_grid_dims
    .group_segment_fixed_size: 0
    .kernarg_segment_align: 8
    .kernarg_segment_size: 312
    .language:       OpenCL C
    .language_version:
      - 2
      - 0
    .max_flat_workgroup_size: 1024
    .name:           _ZL25rocblas_symm_scale_kernelILi128ELi8EPKdPdEviiT1_T2_llli
    .private_segment_fixed_size: 0
    .sgpr_count:     22
    .sgpr_spill_count: 0
    .symbol:         _ZL25rocblas_symm_scale_kernelILi128ELi8EPKdPdEviiT1_T2_llli.kd
    .uniform_work_group_size: 1
    .uses_dynamic_stack: false
    .vgpr_count:     8
    .vgpr_spill_count: 0
    .wavefront_size: 32
    .workgroup_processor_mode: 1
  - .args:
      - .offset:         0
        .size:           1
        .value_kind:     by_value
      - .offset:         4
        .size:           4
        .value_kind:     by_value
      - .offset:         8
        .size:           4
        .value_kind:     by_value
      - .address_space:  global
        .offset:         16
        .size:           8
        .value_kind:     global_buffer
      - .address_space:  global
        .offset:         24
        .size:           8
        .value_kind:     global_buffer
      - .offset:         32
        .size:           8
        .value_kind:     by_value
      - .offset:         40
        .size:           8
        .value_kind:     by_value
      - .offset:         48
        .size:           8
        .value_kind:     by_value
      - .address_space:  global
        .offset:         56
        .size:           8
        .value_kind:     global_buffer
      - .offset:         64
        .size:           8
        .value_kind:     by_value
      - .offset:         72
        .size:           8
        .value_kind:     by_value
      - .offset:         80
        .size:           8
        .value_kind:     by_value
      - .address_space:  global
        .offset:         88
        .size:           8
        .value_kind:     global_buffer
      - .offset:         96
        .size:           8
        .value_kind:     by_value
      - .offset:         104
        .size:           8
        .value_kind:     by_value
      - .offset:         112
        .size:           8
        .value_kind:     by_value
      - .offset:         120
        .size:           4
        .value_kind:     by_value
      - .offset:         128
        .size:           4
        .value_kind:     hidden_block_count_x
      - .offset:         132
        .size:           4
        .value_kind:     hidden_block_count_y
      - .offset:         136
        .size:           4
        .value_kind:     hidden_block_count_z
      - .offset:         140
        .size:           2
        .value_kind:     hidden_group_size_x
      - .offset:         142
        .size:           2
        .value_kind:     hidden_group_size_y
      - .offset:         144
        .size:           2
        .value_kind:     hidden_group_size_z
      - .offset:         146
        .size:           2
        .value_kind:     hidden_remainder_x
      - .offset:         148
        .size:           2
        .value_kind:     hidden_remainder_y
      - .offset:         150
        .size:           2
        .value_kind:     hidden_remainder_z
      - .offset:         168
        .size:           8
        .value_kind:     hidden_global_offset_x
      - .offset:         176
        .size:           8
        .value_kind:     hidden_global_offset_y
      - .offset:         184
        .size:           8
        .value_kind:     hidden_global_offset_z
      - .offset:         192
        .size:           2
        .value_kind:     hidden_grid_dims
    .group_segment_fixed_size: 16384
    .kernarg_segment_align: 8
    .kernarg_segment_size: 384
    .language:       OpenCL C
    .language_version:
      - 2
      - 0
    .max_flat_workgroup_size: 1024
    .name:           _ZL24rocblas_symm_hemm_kernelILb0ELb0ELi32EPKdS1_PdEvbiiT2_T3_lllS4_lllT4_llli
    .private_segment_fixed_size: 0
    .sgpr_count:     46
    .sgpr_spill_count: 0
    .symbol:         _ZL24rocblas_symm_hemm_kernelILb0ELb0ELi32EPKdS1_PdEvbiiT2_T3_lllS4_lllT4_llli.kd
    .uniform_work_group_size: 1
    .uses_dynamic_stack: false
    .vgpr_count:     33
    .vgpr_spill_count: 0
    .wavefront_size: 32
    .workgroup_processor_mode: 1
  - .args:
      - .offset:         0
        .size:           1
        .value_kind:     by_value
      - .offset:         4
        .size:           4
        .value_kind:     by_value
      - .offset:         8
        .size:           4
        .value_kind:     by_value
      - .address_space:  global
        .offset:         16
        .size:           8
        .value_kind:     global_buffer
      - .address_space:  global
        .offset:         24
        .size:           8
        .value_kind:     global_buffer
      - .offset:         32
        .size:           8
        .value_kind:     by_value
      - .offset:         40
        .size:           8
        .value_kind:     by_value
      - .offset:         48
        .size:           8
        .value_kind:     by_value
      - .address_space:  global
        .offset:         56
        .size:           8
        .value_kind:     global_buffer
      - .offset:         64
        .size:           8
        .value_kind:     by_value
      - .offset:         72
        .size:           8
        .value_kind:     by_value
      - .offset:         80
        .size:           8
        .value_kind:     by_value
      - .address_space:  global
        .offset:         88
        .size:           8
        .value_kind:     global_buffer
      - .offset:         96
        .size:           8
        .value_kind:     by_value
      - .offset:         104
        .size:           8
        .value_kind:     by_value
      - .offset:         112
        .size:           8
        .value_kind:     by_value
      - .offset:         120
        .size:           4
        .value_kind:     by_value
      - .offset:         128
        .size:           4
        .value_kind:     hidden_block_count_x
      - .offset:         132
        .size:           4
        .value_kind:     hidden_block_count_y
      - .offset:         136
        .size:           4
        .value_kind:     hidden_block_count_z
      - .offset:         140
        .size:           2
        .value_kind:     hidden_group_size_x
      - .offset:         142
        .size:           2
        .value_kind:     hidden_group_size_y
      - .offset:         144
        .size:           2
        .value_kind:     hidden_group_size_z
      - .offset:         146
        .size:           2
        .value_kind:     hidden_remainder_x
      - .offset:         148
        .size:           2
        .value_kind:     hidden_remainder_y
      - .offset:         150
        .size:           2
        .value_kind:     hidden_remainder_z
      - .offset:         168
        .size:           8
        .value_kind:     hidden_global_offset_x
      - .offset:         176
        .size:           8
        .value_kind:     hidden_global_offset_y
      - .offset:         184
        .size:           8
        .value_kind:     hidden_global_offset_z
      - .offset:         192
        .size:           2
        .value_kind:     hidden_grid_dims
    .group_segment_fixed_size: 16384
    .kernarg_segment_align: 8
    .kernarg_segment_size: 384
    .language:       OpenCL C
    .language_version:
      - 2
      - 0
    .max_flat_workgroup_size: 1024
    .name:           _ZL24rocblas_symm_hemm_kernelILb0ELb1ELi32EPKdS1_PdEvbiiT2_T3_lllS4_lllT4_llli
    .private_segment_fixed_size: 0
    .sgpr_count:     46
    .sgpr_spill_count: 0
    .symbol:         _ZL24rocblas_symm_hemm_kernelILb0ELb1ELi32EPKdS1_PdEvbiiT2_T3_lllS4_lllT4_llli.kd
    .uniform_work_group_size: 1
    .uses_dynamic_stack: false
    .vgpr_count:     33
    .vgpr_spill_count: 0
    .wavefront_size: 32
    .workgroup_processor_mode: 1
  - .args:
      - .offset:         0
        .size:           4
        .value_kind:     by_value
      - .offset:         4
        .size:           4
        .value_kind:     by_value
      - .offset:         8
        .size:           8
        .value_kind:     by_value
      - .address_space:  global
        .offset:         16
        .size:           8
        .value_kind:     global_buffer
      - .offset:         24
        .size:           8
        .value_kind:     by_value
      - .offset:         32
        .size:           8
        .value_kind:     by_value
      - .offset:         40
        .size:           8
        .value_kind:     by_value
      - .offset:         48
        .size:           4
        .value_kind:     by_value
      - .offset:         56
        .size:           4
        .value_kind:     hidden_block_count_x
      - .offset:         60
        .size:           4
        .value_kind:     hidden_block_count_y
      - .offset:         64
        .size:           4
        .value_kind:     hidden_block_count_z
      - .offset:         68
        .size:           2
        .value_kind:     hidden_group_size_x
      - .offset:         70
        .size:           2
        .value_kind:     hidden_group_size_y
      - .offset:         72
        .size:           2
        .value_kind:     hidden_group_size_z
      - .offset:         74
        .size:           2
        .value_kind:     hidden_remainder_x
      - .offset:         76
        .size:           2
        .value_kind:     hidden_remainder_y
      - .offset:         78
        .size:           2
        .value_kind:     hidden_remainder_z
      - .offset:         96
        .size:           8
        .value_kind:     hidden_global_offset_x
      - .offset:         104
        .size:           8
        .value_kind:     hidden_global_offset_y
      - .offset:         112
        .size:           8
        .value_kind:     hidden_global_offset_z
      - .offset:         120
        .size:           2
        .value_kind:     hidden_grid_dims
    .group_segment_fixed_size: 0
    .kernarg_segment_align: 8
    .kernarg_segment_size: 312
    .language:       OpenCL C
    .language_version:
      - 2
      - 0
    .max_flat_workgroup_size: 1024
    .name:           _ZL25rocblas_symm_scale_kernelILi128ELi8EdPdEviiT1_T2_llli
    .private_segment_fixed_size: 0
    .sgpr_count:     22
    .sgpr_spill_count: 0
    .symbol:         _ZL25rocblas_symm_scale_kernelILi128ELi8EdPdEviiT1_T2_llli.kd
    .uniform_work_group_size: 1
    .uses_dynamic_stack: false
    .vgpr_count:     8
    .vgpr_spill_count: 0
    .wavefront_size: 32
    .workgroup_processor_mode: 1
  - .args:
      - .offset:         0
        .size:           1
        .value_kind:     by_value
      - .offset:         4
        .size:           4
        .value_kind:     by_value
      - .offset:         8
        .size:           4
        .value_kind:     by_value
      - .offset:         16
        .size:           8
        .value_kind:     by_value
      - .address_space:  global
        .offset:         24
        .size:           8
        .value_kind:     global_buffer
      - .offset:         32
        .size:           8
        .value_kind:     by_value
      - .offset:         40
        .size:           8
        .value_kind:     by_value
      - .offset:         48
        .size:           8
        .value_kind:     by_value
      - .address_space:  global
        .offset:         56
        .size:           8
        .value_kind:     global_buffer
      - .offset:         64
        .size:           8
        .value_kind:     by_value
      - .offset:         72
        .size:           8
        .value_kind:     by_value
      - .offset:         80
        .size:           8
        .value_kind:     by_value
      - .address_space:  global
        .offset:         88
        .size:           8
        .value_kind:     global_buffer
      - .offset:         96
        .size:           8
        .value_kind:     by_value
      - .offset:         104
        .size:           8
        .value_kind:     by_value
      - .offset:         112
        .size:           8
        .value_kind:     by_value
      - .offset:         120
        .size:           4
        .value_kind:     by_value
      - .offset:         128
        .size:           4
        .value_kind:     hidden_block_count_x
      - .offset:         132
        .size:           4
        .value_kind:     hidden_block_count_y
      - .offset:         136
        .size:           4
        .value_kind:     hidden_block_count_z
      - .offset:         140
        .size:           2
        .value_kind:     hidden_group_size_x
      - .offset:         142
        .size:           2
        .value_kind:     hidden_group_size_y
      - .offset:         144
        .size:           2
        .value_kind:     hidden_group_size_z
      - .offset:         146
        .size:           2
        .value_kind:     hidden_remainder_x
      - .offset:         148
        .size:           2
        .value_kind:     hidden_remainder_y
      - .offset:         150
        .size:           2
        .value_kind:     hidden_remainder_z
      - .offset:         168
        .size:           8
        .value_kind:     hidden_global_offset_x
      - .offset:         176
        .size:           8
        .value_kind:     hidden_global_offset_y
      - .offset:         184
        .size:           8
        .value_kind:     hidden_global_offset_z
      - .offset:         192
        .size:           2
        .value_kind:     hidden_grid_dims
    .group_segment_fixed_size: 16384
    .kernarg_segment_align: 8
    .kernarg_segment_size: 384
    .language:       OpenCL C
    .language_version:
      - 2
      - 0
    .max_flat_workgroup_size: 1024
    .name:           _ZL24rocblas_symm_hemm_kernelILb0ELb0ELi32EdPKdPdEvbiiT2_T3_lllS4_lllT4_llli
    .private_segment_fixed_size: 0
    .sgpr_count:     46
    .sgpr_spill_count: 0
    .symbol:         _ZL24rocblas_symm_hemm_kernelILb0ELb0ELi32EdPKdPdEvbiiT2_T3_lllS4_lllT4_llli.kd
    .uniform_work_group_size: 1
    .uses_dynamic_stack: false
    .vgpr_count:     33
    .vgpr_spill_count: 0
    .wavefront_size: 32
    .workgroup_processor_mode: 1
  - .args:
      - .offset:         0
        .size:           1
        .value_kind:     by_value
      - .offset:         4
        .size:           4
        .value_kind:     by_value
      - .offset:         8
        .size:           4
        .value_kind:     by_value
      - .offset:         16
        .size:           8
        .value_kind:     by_value
      - .address_space:  global
        .offset:         24
        .size:           8
        .value_kind:     global_buffer
      - .offset:         32
        .size:           8
        .value_kind:     by_value
      - .offset:         40
        .size:           8
        .value_kind:     by_value
      - .offset:         48
        .size:           8
        .value_kind:     by_value
      - .address_space:  global
        .offset:         56
        .size:           8
        .value_kind:     global_buffer
      - .offset:         64
        .size:           8
        .value_kind:     by_value
      - .offset:         72
        .size:           8
        .value_kind:     by_value
      - .offset:         80
        .size:           8
        .value_kind:     by_value
      - .address_space:  global
        .offset:         88
        .size:           8
        .value_kind:     global_buffer
      - .offset:         96
        .size:           8
        .value_kind:     by_value
      - .offset:         104
        .size:           8
        .value_kind:     by_value
      - .offset:         112
        .size:           8
        .value_kind:     by_value
      - .offset:         120
        .size:           4
        .value_kind:     by_value
      - .offset:         128
        .size:           4
        .value_kind:     hidden_block_count_x
      - .offset:         132
        .size:           4
        .value_kind:     hidden_block_count_y
      - .offset:         136
        .size:           4
        .value_kind:     hidden_block_count_z
      - .offset:         140
        .size:           2
        .value_kind:     hidden_group_size_x
      - .offset:         142
        .size:           2
        .value_kind:     hidden_group_size_y
      - .offset:         144
        .size:           2
        .value_kind:     hidden_group_size_z
      - .offset:         146
        .size:           2
        .value_kind:     hidden_remainder_x
      - .offset:         148
        .size:           2
        .value_kind:     hidden_remainder_y
      - .offset:         150
        .size:           2
        .value_kind:     hidden_remainder_z
      - .offset:         168
        .size:           8
        .value_kind:     hidden_global_offset_x
      - .offset:         176
        .size:           8
        .value_kind:     hidden_global_offset_y
      - .offset:         184
        .size:           8
        .value_kind:     hidden_global_offset_z
      - .offset:         192
        .size:           2
        .value_kind:     hidden_grid_dims
    .group_segment_fixed_size: 16384
    .kernarg_segment_align: 8
    .kernarg_segment_size: 384
    .language:       OpenCL C
    .language_version:
      - 2
      - 0
    .max_flat_workgroup_size: 1024
    .name:           _ZL24rocblas_symm_hemm_kernelILb0ELb1ELi32EdPKdPdEvbiiT2_T3_lllS4_lllT4_llli
    .private_segment_fixed_size: 0
    .sgpr_count:     46
    .sgpr_spill_count: 0
    .symbol:         _ZL24rocblas_symm_hemm_kernelILb0ELb1ELi32EdPKdPdEvbiiT2_T3_lllS4_lllT4_llli.kd
    .uniform_work_group_size: 1
    .uses_dynamic_stack: false
    .vgpr_count:     33
    .vgpr_spill_count: 0
    .wavefront_size: 32
    .workgroup_processor_mode: 1
  - .args:
      - .offset:         0
        .size:           4
        .value_kind:     by_value
      - .offset:         4
        .size:           4
        .value_kind:     by_value
      - .address_space:  global
        .offset:         8
        .size:           8
        .value_kind:     global_buffer
      - .address_space:  global
        .offset:         16
        .size:           8
        .value_kind:     global_buffer
      - .offset:         24
        .size:           8
        .value_kind:     by_value
      - .offset:         32
        .size:           8
        .value_kind:     by_value
      - .offset:         40
        .size:           8
        .value_kind:     by_value
      - .offset:         48
        .size:           4
        .value_kind:     by_value
      - .offset:         56
        .size:           4
        .value_kind:     hidden_block_count_x
      - .offset:         60
        .size:           4
        .value_kind:     hidden_block_count_y
      - .offset:         64
        .size:           4
        .value_kind:     hidden_block_count_z
      - .offset:         68
        .size:           2
        .value_kind:     hidden_group_size_x
      - .offset:         70
        .size:           2
        .value_kind:     hidden_group_size_y
      - .offset:         72
        .size:           2
        .value_kind:     hidden_group_size_z
      - .offset:         74
        .size:           2
        .value_kind:     hidden_remainder_x
      - .offset:         76
        .size:           2
        .value_kind:     hidden_remainder_y
      - .offset:         78
        .size:           2
        .value_kind:     hidden_remainder_z
      - .offset:         96
        .size:           8
        .value_kind:     hidden_global_offset_x
      - .offset:         104
        .size:           8
        .value_kind:     hidden_global_offset_y
      - .offset:         112
        .size:           8
        .value_kind:     hidden_global_offset_z
      - .offset:         120
        .size:           2
        .value_kind:     hidden_grid_dims
    .group_segment_fixed_size: 0
    .kernarg_segment_align: 8
    .kernarg_segment_size: 312
    .language:       OpenCL C
    .language_version:
      - 2
      - 0
    .max_flat_workgroup_size: 1024
    .name:           _ZL25rocblas_symm_scale_kernelILi128ELi8EPK19rocblas_complex_numIfEPS1_EviiT1_T2_llli
    .private_segment_fixed_size: 0
    .sgpr_count:     22
    .sgpr_spill_count: 0
    .symbol:         _ZL25rocblas_symm_scale_kernelILi128ELi8EPK19rocblas_complex_numIfEPS1_EviiT1_T2_llli.kd
    .uniform_work_group_size: 1
    .uses_dynamic_stack: false
    .vgpr_count:     9
    .vgpr_spill_count: 0
    .wavefront_size: 32
    .workgroup_processor_mode: 1
  - .args:
      - .offset:         0
        .size:           1
        .value_kind:     by_value
      - .offset:         4
        .size:           4
        .value_kind:     by_value
      - .offset:         8
        .size:           4
        .value_kind:     by_value
      - .address_space:  global
        .offset:         16
        .size:           8
        .value_kind:     global_buffer
      - .address_space:  global
        .offset:         24
        .size:           8
        .value_kind:     global_buffer
      - .offset:         32
        .size:           8
        .value_kind:     by_value
      - .offset:         40
        .size:           8
        .value_kind:     by_value
      - .offset:         48
        .size:           8
        .value_kind:     by_value
      - .address_space:  global
        .offset:         56
        .size:           8
        .value_kind:     global_buffer
      - .offset:         64
        .size:           8
        .value_kind:     by_value
      - .offset:         72
        .size:           8
        .value_kind:     by_value
      - .offset:         80
        .size:           8
        .value_kind:     by_value
      - .address_space:  global
        .offset:         88
        .size:           8
        .value_kind:     global_buffer
      - .offset:         96
        .size:           8
        .value_kind:     by_value
      - .offset:         104
        .size:           8
        .value_kind:     by_value
      - .offset:         112
        .size:           8
        .value_kind:     by_value
      - .offset:         120
        .size:           4
        .value_kind:     by_value
      - .offset:         128
        .size:           4
        .value_kind:     hidden_block_count_x
      - .offset:         132
        .size:           4
        .value_kind:     hidden_block_count_y
      - .offset:         136
        .size:           4
        .value_kind:     hidden_block_count_z
      - .offset:         140
        .size:           2
        .value_kind:     hidden_group_size_x
      - .offset:         142
        .size:           2
        .value_kind:     hidden_group_size_y
      - .offset:         144
        .size:           2
        .value_kind:     hidden_group_size_z
      - .offset:         146
        .size:           2
        .value_kind:     hidden_remainder_x
      - .offset:         148
        .size:           2
        .value_kind:     hidden_remainder_y
      - .offset:         150
        .size:           2
        .value_kind:     hidden_remainder_z
      - .offset:         168
        .size:           8
        .value_kind:     hidden_global_offset_x
      - .offset:         176
        .size:           8
        .value_kind:     hidden_global_offset_y
      - .offset:         184
        .size:           8
        .value_kind:     hidden_global_offset_z
      - .offset:         192
        .size:           2
        .value_kind:     hidden_grid_dims
    .group_segment_fixed_size: 16384
    .kernarg_segment_align: 8
    .kernarg_segment_size: 384
    .language:       OpenCL C
    .language_version:
      - 2
      - 0
    .max_flat_workgroup_size: 1024
    .name:           _ZL24rocblas_symm_hemm_kernelILb0ELb0ELi32EPK19rocblas_complex_numIfES3_PS1_EvbiiT2_T3_lllS6_lllT4_llli
    .private_segment_fixed_size: 0
    .sgpr_count:     46
    .sgpr_spill_count: 0
    .symbol:         _ZL24rocblas_symm_hemm_kernelILb0ELb0ELi32EPK19rocblas_complex_numIfES3_PS1_EvbiiT2_T3_lllS6_lllT4_llli.kd
    .uniform_work_group_size: 1
    .uses_dynamic_stack: false
    .vgpr_count:     38
    .vgpr_spill_count: 0
    .wavefront_size: 32
    .workgroup_processor_mode: 1
  - .args:
      - .offset:         0
        .size:           1
        .value_kind:     by_value
      - .offset:         4
        .size:           4
        .value_kind:     by_value
      - .offset:         8
        .size:           4
        .value_kind:     by_value
      - .address_space:  global
        .offset:         16
        .size:           8
        .value_kind:     global_buffer
      - .address_space:  global
        .offset:         24
        .size:           8
        .value_kind:     global_buffer
      - .offset:         32
        .size:           8
        .value_kind:     by_value
      - .offset:         40
        .size:           8
        .value_kind:     by_value
      - .offset:         48
        .size:           8
        .value_kind:     by_value
      - .address_space:  global
        .offset:         56
        .size:           8
        .value_kind:     global_buffer
      - .offset:         64
        .size:           8
        .value_kind:     by_value
      - .offset:         72
        .size:           8
        .value_kind:     by_value
      - .offset:         80
        .size:           8
        .value_kind:     by_value
      - .address_space:  global
        .offset:         88
        .size:           8
        .value_kind:     global_buffer
      - .offset:         96
        .size:           8
        .value_kind:     by_value
      - .offset:         104
        .size:           8
        .value_kind:     by_value
      - .offset:         112
        .size:           8
        .value_kind:     by_value
      - .offset:         120
        .size:           4
        .value_kind:     by_value
      - .offset:         128
        .size:           4
        .value_kind:     hidden_block_count_x
      - .offset:         132
        .size:           4
        .value_kind:     hidden_block_count_y
      - .offset:         136
        .size:           4
        .value_kind:     hidden_block_count_z
      - .offset:         140
        .size:           2
        .value_kind:     hidden_group_size_x
      - .offset:         142
        .size:           2
        .value_kind:     hidden_group_size_y
      - .offset:         144
        .size:           2
        .value_kind:     hidden_group_size_z
      - .offset:         146
        .size:           2
        .value_kind:     hidden_remainder_x
      - .offset:         148
        .size:           2
        .value_kind:     hidden_remainder_y
      - .offset:         150
        .size:           2
        .value_kind:     hidden_remainder_z
      - .offset:         168
        .size:           8
        .value_kind:     hidden_global_offset_x
      - .offset:         176
        .size:           8
        .value_kind:     hidden_global_offset_y
      - .offset:         184
        .size:           8
        .value_kind:     hidden_global_offset_z
      - .offset:         192
        .size:           2
        .value_kind:     hidden_grid_dims
    .group_segment_fixed_size: 16384
    .kernarg_segment_align: 8
    .kernarg_segment_size: 384
    .language:       OpenCL C
    .language_version:
      - 2
      - 0
    .max_flat_workgroup_size: 1024
    .name:           _ZL24rocblas_symm_hemm_kernelILb0ELb1ELi32EPK19rocblas_complex_numIfES3_PS1_EvbiiT2_T3_lllS6_lllT4_llli
    .private_segment_fixed_size: 0
    .sgpr_count:     46
    .sgpr_spill_count: 0
    .symbol:         _ZL24rocblas_symm_hemm_kernelILb0ELb1ELi32EPK19rocblas_complex_numIfES3_PS1_EvbiiT2_T3_lllS6_lllT4_llli.kd
    .uniform_work_group_size: 1
    .uses_dynamic_stack: false
    .vgpr_count:     38
    .vgpr_spill_count: 0
    .wavefront_size: 32
    .workgroup_processor_mode: 1
  - .args:
      - .offset:         0
        .size:           4
        .value_kind:     by_value
      - .offset:         4
        .size:           4
        .value_kind:     by_value
      - .offset:         8
        .size:           8
        .value_kind:     by_value
      - .address_space:  global
        .offset:         16
        .size:           8
        .value_kind:     global_buffer
      - .offset:         24
        .size:           8
        .value_kind:     by_value
      - .offset:         32
        .size:           8
        .value_kind:     by_value
      - .offset:         40
        .size:           8
        .value_kind:     by_value
      - .offset:         48
        .size:           4
        .value_kind:     by_value
      - .offset:         56
        .size:           4
        .value_kind:     hidden_block_count_x
      - .offset:         60
        .size:           4
        .value_kind:     hidden_block_count_y
      - .offset:         64
        .size:           4
        .value_kind:     hidden_block_count_z
      - .offset:         68
        .size:           2
        .value_kind:     hidden_group_size_x
      - .offset:         70
        .size:           2
        .value_kind:     hidden_group_size_y
      - .offset:         72
        .size:           2
        .value_kind:     hidden_group_size_z
      - .offset:         74
        .size:           2
        .value_kind:     hidden_remainder_x
      - .offset:         76
        .size:           2
        .value_kind:     hidden_remainder_y
      - .offset:         78
        .size:           2
        .value_kind:     hidden_remainder_z
      - .offset:         96
        .size:           8
        .value_kind:     hidden_global_offset_x
      - .offset:         104
        .size:           8
        .value_kind:     hidden_global_offset_y
      - .offset:         112
        .size:           8
        .value_kind:     hidden_global_offset_z
      - .offset:         120
        .size:           2
        .value_kind:     hidden_grid_dims
    .group_segment_fixed_size: 0
    .kernarg_segment_align: 8
    .kernarg_segment_size: 312
    .language:       OpenCL C
    .language_version:
      - 2
      - 0
    .max_flat_workgroup_size: 1024
    .name:           _ZL25rocblas_symm_scale_kernelILi128ELi8E19rocblas_complex_numIfEPS1_EviiT1_T2_llli
    .private_segment_fixed_size: 0
    .sgpr_count:     22
    .sgpr_spill_count: 0
    .symbol:         _ZL25rocblas_symm_scale_kernelILi128ELi8E19rocblas_complex_numIfEPS1_EviiT1_T2_llli.kd
    .uniform_work_group_size: 1
    .uses_dynamic_stack: false
    .vgpr_count:     9
    .vgpr_spill_count: 0
    .wavefront_size: 32
    .workgroup_processor_mode: 1
  - .args:
      - .offset:         0
        .size:           1
        .value_kind:     by_value
      - .offset:         4
        .size:           4
        .value_kind:     by_value
      - .offset:         8
        .size:           4
        .value_kind:     by_value
      - .offset:         12
        .size:           8
        .value_kind:     by_value
      - .address_space:  global
        .offset:         24
        .size:           8
        .value_kind:     global_buffer
      - .offset:         32
        .size:           8
        .value_kind:     by_value
      - .offset:         40
        .size:           8
        .value_kind:     by_value
      - .offset:         48
        .size:           8
        .value_kind:     by_value
      - .address_space:  global
        .offset:         56
        .size:           8
        .value_kind:     global_buffer
      - .offset:         64
        .size:           8
        .value_kind:     by_value
      - .offset:         72
        .size:           8
        .value_kind:     by_value
      - .offset:         80
        .size:           8
        .value_kind:     by_value
      - .address_space:  global
        .offset:         88
        .size:           8
        .value_kind:     global_buffer
      - .offset:         96
        .size:           8
        .value_kind:     by_value
      - .offset:         104
        .size:           8
        .value_kind:     by_value
      - .offset:         112
        .size:           8
        .value_kind:     by_value
      - .offset:         120
        .size:           4
        .value_kind:     by_value
      - .offset:         128
        .size:           4
        .value_kind:     hidden_block_count_x
      - .offset:         132
        .size:           4
        .value_kind:     hidden_block_count_y
      - .offset:         136
        .size:           4
        .value_kind:     hidden_block_count_z
      - .offset:         140
        .size:           2
        .value_kind:     hidden_group_size_x
      - .offset:         142
        .size:           2
        .value_kind:     hidden_group_size_y
      - .offset:         144
        .size:           2
        .value_kind:     hidden_group_size_z
      - .offset:         146
        .size:           2
        .value_kind:     hidden_remainder_x
      - .offset:         148
        .size:           2
        .value_kind:     hidden_remainder_y
      - .offset:         150
        .size:           2
        .value_kind:     hidden_remainder_z
      - .offset:         168
        .size:           8
        .value_kind:     hidden_global_offset_x
      - .offset:         176
        .size:           8
        .value_kind:     hidden_global_offset_y
      - .offset:         184
        .size:           8
        .value_kind:     hidden_global_offset_z
      - .offset:         192
        .size:           2
        .value_kind:     hidden_grid_dims
    .group_segment_fixed_size: 16384
    .kernarg_segment_align: 8
    .kernarg_segment_size: 384
    .language:       OpenCL C
    .language_version:
      - 2
      - 0
    .max_flat_workgroup_size: 1024
    .name:           _ZL24rocblas_symm_hemm_kernelILb0ELb0ELi32E19rocblas_complex_numIfEPKS1_PS1_EvbiiT2_T3_lllS6_lllT4_llli
    .private_segment_fixed_size: 0
    .sgpr_count:     46
    .sgpr_spill_count: 0
    .symbol:         _ZL24rocblas_symm_hemm_kernelILb0ELb0ELi32E19rocblas_complex_numIfEPKS1_PS1_EvbiiT2_T3_lllS6_lllT4_llli.kd
    .uniform_work_group_size: 1
    .uses_dynamic_stack: false
    .vgpr_count:     38
    .vgpr_spill_count: 0
    .wavefront_size: 32
    .workgroup_processor_mode: 1
  - .args:
      - .offset:         0
        .size:           1
        .value_kind:     by_value
      - .offset:         4
        .size:           4
        .value_kind:     by_value
      - .offset:         8
        .size:           4
        .value_kind:     by_value
      - .offset:         12
        .size:           8
        .value_kind:     by_value
      - .address_space:  global
        .offset:         24
        .size:           8
        .value_kind:     global_buffer
      - .offset:         32
        .size:           8
        .value_kind:     by_value
      - .offset:         40
        .size:           8
        .value_kind:     by_value
      - .offset:         48
        .size:           8
        .value_kind:     by_value
      - .address_space:  global
        .offset:         56
        .size:           8
        .value_kind:     global_buffer
      - .offset:         64
        .size:           8
        .value_kind:     by_value
      - .offset:         72
        .size:           8
        .value_kind:     by_value
      - .offset:         80
        .size:           8
        .value_kind:     by_value
      - .address_space:  global
        .offset:         88
        .size:           8
        .value_kind:     global_buffer
      - .offset:         96
        .size:           8
        .value_kind:     by_value
      - .offset:         104
        .size:           8
        .value_kind:     by_value
      - .offset:         112
        .size:           8
        .value_kind:     by_value
      - .offset:         120
        .size:           4
        .value_kind:     by_value
      - .offset:         128
        .size:           4
        .value_kind:     hidden_block_count_x
      - .offset:         132
        .size:           4
        .value_kind:     hidden_block_count_y
      - .offset:         136
        .size:           4
        .value_kind:     hidden_block_count_z
      - .offset:         140
        .size:           2
        .value_kind:     hidden_group_size_x
      - .offset:         142
        .size:           2
        .value_kind:     hidden_group_size_y
      - .offset:         144
        .size:           2
        .value_kind:     hidden_group_size_z
      - .offset:         146
        .size:           2
        .value_kind:     hidden_remainder_x
      - .offset:         148
        .size:           2
        .value_kind:     hidden_remainder_y
      - .offset:         150
        .size:           2
        .value_kind:     hidden_remainder_z
      - .offset:         168
        .size:           8
        .value_kind:     hidden_global_offset_x
      - .offset:         176
        .size:           8
        .value_kind:     hidden_global_offset_y
      - .offset:         184
        .size:           8
        .value_kind:     hidden_global_offset_z
      - .offset:         192
        .size:           2
        .value_kind:     hidden_grid_dims
    .group_segment_fixed_size: 16384
    .kernarg_segment_align: 8
    .kernarg_segment_size: 384
    .language:       OpenCL C
    .language_version:
      - 2
      - 0
    .max_flat_workgroup_size: 1024
    .name:           _ZL24rocblas_symm_hemm_kernelILb0ELb1ELi32E19rocblas_complex_numIfEPKS1_PS1_EvbiiT2_T3_lllS6_lllT4_llli
    .private_segment_fixed_size: 0
    .sgpr_count:     46
    .sgpr_spill_count: 0
    .symbol:         _ZL24rocblas_symm_hemm_kernelILb0ELb1ELi32E19rocblas_complex_numIfEPKS1_PS1_EvbiiT2_T3_lllS6_lllT4_llli.kd
    .uniform_work_group_size: 1
    .uses_dynamic_stack: false
    .vgpr_count:     38
    .vgpr_spill_count: 0
    .wavefront_size: 32
    .workgroup_processor_mode: 1
  - .args:
      - .offset:         0
        .size:           4
        .value_kind:     by_value
      - .offset:         4
        .size:           4
        .value_kind:     by_value
      - .address_space:  global
        .offset:         8
        .size:           8
        .value_kind:     global_buffer
      - .address_space:  global
        .offset:         16
        .size:           8
        .value_kind:     global_buffer
      - .offset:         24
        .size:           8
        .value_kind:     by_value
      - .offset:         32
        .size:           8
        .value_kind:     by_value
      - .offset:         40
        .size:           8
        .value_kind:     by_value
      - .offset:         48
        .size:           4
        .value_kind:     by_value
      - .offset:         56
        .size:           4
        .value_kind:     hidden_block_count_x
      - .offset:         60
        .size:           4
        .value_kind:     hidden_block_count_y
      - .offset:         64
        .size:           4
        .value_kind:     hidden_block_count_z
      - .offset:         68
        .size:           2
        .value_kind:     hidden_group_size_x
      - .offset:         70
        .size:           2
        .value_kind:     hidden_group_size_y
      - .offset:         72
        .size:           2
        .value_kind:     hidden_group_size_z
      - .offset:         74
        .size:           2
        .value_kind:     hidden_remainder_x
      - .offset:         76
        .size:           2
        .value_kind:     hidden_remainder_y
      - .offset:         78
        .size:           2
        .value_kind:     hidden_remainder_z
      - .offset:         96
        .size:           8
        .value_kind:     hidden_global_offset_x
      - .offset:         104
        .size:           8
        .value_kind:     hidden_global_offset_y
      - .offset:         112
        .size:           8
        .value_kind:     hidden_global_offset_z
      - .offset:         120
        .size:           2
        .value_kind:     hidden_grid_dims
    .group_segment_fixed_size: 0
    .kernarg_segment_align: 8
    .kernarg_segment_size: 312
    .language:       OpenCL C
    .language_version:
      - 2
      - 0
    .max_flat_workgroup_size: 1024
    .name:           _ZL25rocblas_symm_scale_kernelILi128ELi8EPK19rocblas_complex_numIdEPS1_EviiT1_T2_llli
    .private_segment_fixed_size: 0
    .sgpr_count:     26
    .sgpr_spill_count: 0
    .symbol:         _ZL25rocblas_symm_scale_kernelILi128ELi8EPK19rocblas_complex_numIdEPS1_EviiT1_T2_llli.kd
    .uniform_work_group_size: 1
    .uses_dynamic_stack: false
    .vgpr_count:     12
    .vgpr_spill_count: 0
    .wavefront_size: 32
    .workgroup_processor_mode: 1
  - .args:
      - .offset:         0
        .size:           1
        .value_kind:     by_value
      - .offset:         4
        .size:           4
        .value_kind:     by_value
      - .offset:         8
        .size:           4
        .value_kind:     by_value
      - .address_space:  global
        .offset:         16
        .size:           8
        .value_kind:     global_buffer
      - .address_space:  global
        .offset:         24
        .size:           8
        .value_kind:     global_buffer
      - .offset:         32
        .size:           8
        .value_kind:     by_value
      - .offset:         40
        .size:           8
        .value_kind:     by_value
      - .offset:         48
        .size:           8
        .value_kind:     by_value
      - .address_space:  global
        .offset:         56
        .size:           8
        .value_kind:     global_buffer
      - .offset:         64
        .size:           8
        .value_kind:     by_value
      - .offset:         72
        .size:           8
        .value_kind:     by_value
      - .offset:         80
        .size:           8
        .value_kind:     by_value
      - .address_space:  global
        .offset:         88
        .size:           8
        .value_kind:     global_buffer
      - .offset:         96
        .size:           8
        .value_kind:     by_value
      - .offset:         104
        .size:           8
        .value_kind:     by_value
      - .offset:         112
        .size:           8
        .value_kind:     by_value
      - .offset:         120
        .size:           4
        .value_kind:     by_value
      - .offset:         128
        .size:           4
        .value_kind:     hidden_block_count_x
      - .offset:         132
        .size:           4
        .value_kind:     hidden_block_count_y
      - .offset:         136
        .size:           4
        .value_kind:     hidden_block_count_z
      - .offset:         140
        .size:           2
        .value_kind:     hidden_group_size_x
      - .offset:         142
        .size:           2
        .value_kind:     hidden_group_size_y
      - .offset:         144
        .size:           2
        .value_kind:     hidden_group_size_z
      - .offset:         146
        .size:           2
        .value_kind:     hidden_remainder_x
      - .offset:         148
        .size:           2
        .value_kind:     hidden_remainder_y
      - .offset:         150
        .size:           2
        .value_kind:     hidden_remainder_z
      - .offset:         168
        .size:           8
        .value_kind:     hidden_global_offset_x
      - .offset:         176
        .size:           8
        .value_kind:     hidden_global_offset_y
      - .offset:         184
        .size:           8
        .value_kind:     hidden_global_offset_z
      - .offset:         192
        .size:           2
        .value_kind:     hidden_grid_dims
    .group_segment_fixed_size: 32768
    .kernarg_segment_align: 8
    .kernarg_segment_size: 384
    .language:       OpenCL C
    .language_version:
      - 2
      - 0
    .max_flat_workgroup_size: 1024
    .name:           _ZL24rocblas_symm_hemm_kernelILb0ELb0ELi32EPK19rocblas_complex_numIdES3_PS1_EvbiiT2_T3_lllS6_lllT4_llli
    .private_segment_fixed_size: 0
    .sgpr_count:     50
    .sgpr_spill_count: 0
    .symbol:         _ZL24rocblas_symm_hemm_kernelILb0ELb0ELi32EPK19rocblas_complex_numIdES3_PS1_EvbiiT2_T3_lllS6_lllT4_llli.kd
    .uniform_work_group_size: 1
    .uses_dynamic_stack: false
    .vgpr_count:     55
    .vgpr_spill_count: 0
    .wavefront_size: 32
    .workgroup_processor_mode: 1
  - .args:
      - .offset:         0
        .size:           1
        .value_kind:     by_value
      - .offset:         4
        .size:           4
        .value_kind:     by_value
      - .offset:         8
        .size:           4
        .value_kind:     by_value
      - .address_space:  global
        .offset:         16
        .size:           8
        .value_kind:     global_buffer
      - .address_space:  global
        .offset:         24
        .size:           8
        .value_kind:     global_buffer
      - .offset:         32
        .size:           8
        .value_kind:     by_value
      - .offset:         40
        .size:           8
        .value_kind:     by_value
      - .offset:         48
        .size:           8
        .value_kind:     by_value
      - .address_space:  global
        .offset:         56
        .size:           8
        .value_kind:     global_buffer
      - .offset:         64
        .size:           8
        .value_kind:     by_value
      - .offset:         72
        .size:           8
        .value_kind:     by_value
      - .offset:         80
        .size:           8
        .value_kind:     by_value
      - .address_space:  global
        .offset:         88
        .size:           8
        .value_kind:     global_buffer
      - .offset:         96
        .size:           8
        .value_kind:     by_value
      - .offset:         104
        .size:           8
        .value_kind:     by_value
      - .offset:         112
        .size:           8
        .value_kind:     by_value
      - .offset:         120
        .size:           4
        .value_kind:     by_value
      - .offset:         128
        .size:           4
        .value_kind:     hidden_block_count_x
      - .offset:         132
        .size:           4
        .value_kind:     hidden_block_count_y
      - .offset:         136
        .size:           4
        .value_kind:     hidden_block_count_z
      - .offset:         140
        .size:           2
        .value_kind:     hidden_group_size_x
      - .offset:         142
        .size:           2
        .value_kind:     hidden_group_size_y
      - .offset:         144
        .size:           2
        .value_kind:     hidden_group_size_z
      - .offset:         146
        .size:           2
        .value_kind:     hidden_remainder_x
      - .offset:         148
        .size:           2
        .value_kind:     hidden_remainder_y
      - .offset:         150
        .size:           2
        .value_kind:     hidden_remainder_z
      - .offset:         168
        .size:           8
        .value_kind:     hidden_global_offset_x
      - .offset:         176
        .size:           8
        .value_kind:     hidden_global_offset_y
      - .offset:         184
        .size:           8
        .value_kind:     hidden_global_offset_z
      - .offset:         192
        .size:           2
        .value_kind:     hidden_grid_dims
    .group_segment_fixed_size: 32768
    .kernarg_segment_align: 8
    .kernarg_segment_size: 384
    .language:       OpenCL C
    .language_version:
      - 2
      - 0
    .max_flat_workgroup_size: 1024
    .name:           _ZL24rocblas_symm_hemm_kernelILb0ELb1ELi32EPK19rocblas_complex_numIdES3_PS1_EvbiiT2_T3_lllS6_lllT4_llli
    .private_segment_fixed_size: 0
    .sgpr_count:     50
    .sgpr_spill_count: 0
    .symbol:         _ZL24rocblas_symm_hemm_kernelILb0ELb1ELi32EPK19rocblas_complex_numIdES3_PS1_EvbiiT2_T3_lllS6_lllT4_llli.kd
    .uniform_work_group_size: 1
    .uses_dynamic_stack: false
    .vgpr_count:     55
    .vgpr_spill_count: 0
    .wavefront_size: 32
    .workgroup_processor_mode: 1
  - .args:
      - .offset:         0
        .size:           4
        .value_kind:     by_value
      - .offset:         4
        .size:           4
        .value_kind:     by_value
      - .offset:         8
        .size:           16
        .value_kind:     by_value
      - .address_space:  global
        .offset:         24
        .size:           8
        .value_kind:     global_buffer
      - .offset:         32
        .size:           8
        .value_kind:     by_value
      - .offset:         40
        .size:           8
        .value_kind:     by_value
      - .offset:         48
        .size:           8
        .value_kind:     by_value
      - .offset:         56
        .size:           4
        .value_kind:     by_value
      - .offset:         64
        .size:           4
        .value_kind:     hidden_block_count_x
      - .offset:         68
        .size:           4
        .value_kind:     hidden_block_count_y
      - .offset:         72
        .size:           4
        .value_kind:     hidden_block_count_z
      - .offset:         76
        .size:           2
        .value_kind:     hidden_group_size_x
      - .offset:         78
        .size:           2
        .value_kind:     hidden_group_size_y
      - .offset:         80
        .size:           2
        .value_kind:     hidden_group_size_z
      - .offset:         82
        .size:           2
        .value_kind:     hidden_remainder_x
      - .offset:         84
        .size:           2
        .value_kind:     hidden_remainder_y
      - .offset:         86
        .size:           2
        .value_kind:     hidden_remainder_z
      - .offset:         104
        .size:           8
        .value_kind:     hidden_global_offset_x
      - .offset:         112
        .size:           8
        .value_kind:     hidden_global_offset_y
      - .offset:         120
        .size:           8
        .value_kind:     hidden_global_offset_z
      - .offset:         128
        .size:           2
        .value_kind:     hidden_grid_dims
    .group_segment_fixed_size: 0
    .kernarg_segment_align: 8
    .kernarg_segment_size: 320
    .language:       OpenCL C
    .language_version:
      - 2
      - 0
    .max_flat_workgroup_size: 1024
    .name:           _ZL25rocblas_symm_scale_kernelILi128ELi8E19rocblas_complex_numIdEPS1_EviiT1_T2_llli
    .private_segment_fixed_size: 0
    .sgpr_count:     22
    .sgpr_spill_count: 0
    .symbol:         _ZL25rocblas_symm_scale_kernelILi128ELi8E19rocblas_complex_numIdEPS1_EviiT1_T2_llli.kd
    .uniform_work_group_size: 1
    .uses_dynamic_stack: false
    .vgpr_count:     12
    .vgpr_spill_count: 0
    .wavefront_size: 32
    .workgroup_processor_mode: 1
  - .args:
      - .offset:         0
        .size:           1
        .value_kind:     by_value
      - .offset:         4
        .size:           4
        .value_kind:     by_value
      - .offset:         8
        .size:           4
        .value_kind:     by_value
      - .offset:         16
        .size:           16
        .value_kind:     by_value
      - .address_space:  global
        .offset:         32
        .size:           8
        .value_kind:     global_buffer
      - .offset:         40
        .size:           8
        .value_kind:     by_value
      - .offset:         48
        .size:           8
        .value_kind:     by_value
      - .offset:         56
        .size:           8
        .value_kind:     by_value
      - .address_space:  global
        .offset:         64
        .size:           8
        .value_kind:     global_buffer
      - .offset:         72
        .size:           8
        .value_kind:     by_value
      - .offset:         80
        .size:           8
        .value_kind:     by_value
      - .offset:         88
        .size:           8
        .value_kind:     by_value
      - .address_space:  global
        .offset:         96
        .size:           8
        .value_kind:     global_buffer
      - .offset:         104
        .size:           8
        .value_kind:     by_value
      - .offset:         112
        .size:           8
        .value_kind:     by_value
      - .offset:         120
        .size:           8
        .value_kind:     by_value
      - .offset:         128
        .size:           4
        .value_kind:     by_value
      - .offset:         136
        .size:           4
        .value_kind:     hidden_block_count_x
      - .offset:         140
        .size:           4
        .value_kind:     hidden_block_count_y
      - .offset:         144
        .size:           4
        .value_kind:     hidden_block_count_z
      - .offset:         148
        .size:           2
        .value_kind:     hidden_group_size_x
      - .offset:         150
        .size:           2
        .value_kind:     hidden_group_size_y
      - .offset:         152
        .size:           2
        .value_kind:     hidden_group_size_z
      - .offset:         154
        .size:           2
        .value_kind:     hidden_remainder_x
      - .offset:         156
        .size:           2
        .value_kind:     hidden_remainder_y
      - .offset:         158
        .size:           2
        .value_kind:     hidden_remainder_z
      - .offset:         176
        .size:           8
        .value_kind:     hidden_global_offset_x
      - .offset:         184
        .size:           8
        .value_kind:     hidden_global_offset_y
      - .offset:         192
        .size:           8
        .value_kind:     hidden_global_offset_z
      - .offset:         200
        .size:           2
        .value_kind:     hidden_grid_dims
    .group_segment_fixed_size: 32768
    .kernarg_segment_align: 8
    .kernarg_segment_size: 392
    .language:       OpenCL C
    .language_version:
      - 2
      - 0
    .max_flat_workgroup_size: 1024
    .name:           _ZL24rocblas_symm_hemm_kernelILb0ELb0ELi32E19rocblas_complex_numIdEPKS1_PS1_EvbiiT2_T3_lllS6_lllT4_llli
    .private_segment_fixed_size: 0
    .sgpr_count:     50
    .sgpr_spill_count: 0
    .symbol:         _ZL24rocblas_symm_hemm_kernelILb0ELb0ELi32E19rocblas_complex_numIdEPKS1_PS1_EvbiiT2_T3_lllS6_lllT4_llli.kd
    .uniform_work_group_size: 1
    .uses_dynamic_stack: false
    .vgpr_count:     55
    .vgpr_spill_count: 0
    .wavefront_size: 32
    .workgroup_processor_mode: 1
  - .args:
      - .offset:         0
        .size:           1
        .value_kind:     by_value
      - .offset:         4
        .size:           4
        .value_kind:     by_value
      - .offset:         8
        .size:           4
        .value_kind:     by_value
      - .offset:         16
        .size:           16
        .value_kind:     by_value
      - .address_space:  global
        .offset:         32
        .size:           8
        .value_kind:     global_buffer
      - .offset:         40
        .size:           8
        .value_kind:     by_value
      - .offset:         48
        .size:           8
        .value_kind:     by_value
      - .offset:         56
        .size:           8
        .value_kind:     by_value
      - .address_space:  global
        .offset:         64
        .size:           8
        .value_kind:     global_buffer
      - .offset:         72
        .size:           8
        .value_kind:     by_value
      - .offset:         80
        .size:           8
        .value_kind:     by_value
      - .offset:         88
        .size:           8
        .value_kind:     by_value
      - .address_space:  global
        .offset:         96
        .size:           8
        .value_kind:     global_buffer
      - .offset:         104
        .size:           8
        .value_kind:     by_value
      - .offset:         112
        .size:           8
        .value_kind:     by_value
      - .offset:         120
        .size:           8
        .value_kind:     by_value
      - .offset:         128
        .size:           4
        .value_kind:     by_value
      - .offset:         136
        .size:           4
        .value_kind:     hidden_block_count_x
      - .offset:         140
        .size:           4
        .value_kind:     hidden_block_count_y
      - .offset:         144
        .size:           4
        .value_kind:     hidden_block_count_z
      - .offset:         148
        .size:           2
        .value_kind:     hidden_group_size_x
      - .offset:         150
        .size:           2
        .value_kind:     hidden_group_size_y
      - .offset:         152
        .size:           2
        .value_kind:     hidden_group_size_z
      - .offset:         154
        .size:           2
        .value_kind:     hidden_remainder_x
      - .offset:         156
        .size:           2
        .value_kind:     hidden_remainder_y
      - .offset:         158
        .size:           2
        .value_kind:     hidden_remainder_z
      - .offset:         176
        .size:           8
        .value_kind:     hidden_global_offset_x
      - .offset:         184
        .size:           8
        .value_kind:     hidden_global_offset_y
      - .offset:         192
        .size:           8
        .value_kind:     hidden_global_offset_z
      - .offset:         200
        .size:           2
        .value_kind:     hidden_grid_dims
    .group_segment_fixed_size: 32768
    .kernarg_segment_align: 8
    .kernarg_segment_size: 392
    .language:       OpenCL C
    .language_version:
      - 2
      - 0
    .max_flat_workgroup_size: 1024
    .name:           _ZL24rocblas_symm_hemm_kernelILb0ELb1ELi32E19rocblas_complex_numIdEPKS1_PS1_EvbiiT2_T3_lllS6_lllT4_llli
    .private_segment_fixed_size: 0
    .sgpr_count:     50
    .sgpr_spill_count: 0
    .symbol:         _ZL24rocblas_symm_hemm_kernelILb0ELb1ELi32E19rocblas_complex_numIdEPKS1_PS1_EvbiiT2_T3_lllS6_lllT4_llli.kd
    .uniform_work_group_size: 1
    .uses_dynamic_stack: false
    .vgpr_count:     55
    .vgpr_spill_count: 0
    .wavefront_size: 32
    .workgroup_processor_mode: 1
  - .args:
      - .offset:         0
        .size:           1
        .value_kind:     by_value
      - .offset:         4
        .size:           4
        .value_kind:     by_value
      - .offset:         8
        .size:           4
        .value_kind:     by_value
      - .address_space:  global
        .offset:         16
        .size:           8
        .value_kind:     global_buffer
      - .address_space:  global
        .offset:         24
        .size:           8
        .value_kind:     global_buffer
      - .offset:         32
        .size:           8
        .value_kind:     by_value
      - .offset:         40
        .size:           8
        .value_kind:     by_value
      - .offset:         48
        .size:           8
        .value_kind:     by_value
      - .address_space:  global
        .offset:         56
        .size:           8
        .value_kind:     global_buffer
      - .offset:         64
        .size:           8
        .value_kind:     by_value
      - .offset:         72
        .size:           8
        .value_kind:     by_value
      - .offset:         80
        .size:           8
        .value_kind:     by_value
      - .address_space:  global
        .offset:         88
        .size:           8
        .value_kind:     global_buffer
      - .offset:         96
        .size:           8
        .value_kind:     by_value
      - .offset:         104
        .size:           8
        .value_kind:     by_value
      - .offset:         112
        .size:           8
        .value_kind:     by_value
      - .offset:         120
        .size:           4
        .value_kind:     by_value
      - .offset:         128
        .size:           4
        .value_kind:     hidden_block_count_x
      - .offset:         132
        .size:           4
        .value_kind:     hidden_block_count_y
      - .offset:         136
        .size:           4
        .value_kind:     hidden_block_count_z
      - .offset:         140
        .size:           2
        .value_kind:     hidden_group_size_x
      - .offset:         142
        .size:           2
        .value_kind:     hidden_group_size_y
      - .offset:         144
        .size:           2
        .value_kind:     hidden_group_size_z
      - .offset:         146
        .size:           2
        .value_kind:     hidden_remainder_x
      - .offset:         148
        .size:           2
        .value_kind:     hidden_remainder_y
      - .offset:         150
        .size:           2
        .value_kind:     hidden_remainder_z
      - .offset:         168
        .size:           8
        .value_kind:     hidden_global_offset_x
      - .offset:         176
        .size:           8
        .value_kind:     hidden_global_offset_y
      - .offset:         184
        .size:           8
        .value_kind:     hidden_global_offset_z
      - .offset:         192
        .size:           2
        .value_kind:     hidden_grid_dims
    .group_segment_fixed_size: 16384
    .kernarg_segment_align: 8
    .kernarg_segment_size: 384
    .language:       OpenCL C
    .language_version:
      - 2
      - 0
    .max_flat_workgroup_size: 1024
    .name:           _ZL24rocblas_symm_hemm_kernelILb1ELb0ELi32EPK19rocblas_complex_numIfES3_PS1_EvbiiT2_T3_lllS6_lllT4_llli
    .private_segment_fixed_size: 0
    .sgpr_count:     46
    .sgpr_spill_count: 0
    .symbol:         _ZL24rocblas_symm_hemm_kernelILb1ELb0ELi32EPK19rocblas_complex_numIfES3_PS1_EvbiiT2_T3_lllS6_lllT4_llli.kd
    .uniform_work_group_size: 1
    .uses_dynamic_stack: false
    .vgpr_count:     44
    .vgpr_spill_count: 0
    .wavefront_size: 32
    .workgroup_processor_mode: 1
  - .args:
      - .offset:         0
        .size:           1
        .value_kind:     by_value
      - .offset:         4
        .size:           4
        .value_kind:     by_value
      - .offset:         8
        .size:           4
        .value_kind:     by_value
      - .address_space:  global
        .offset:         16
        .size:           8
        .value_kind:     global_buffer
      - .address_space:  global
        .offset:         24
        .size:           8
        .value_kind:     global_buffer
      - .offset:         32
        .size:           8
        .value_kind:     by_value
      - .offset:         40
        .size:           8
        .value_kind:     by_value
      - .offset:         48
        .size:           8
        .value_kind:     by_value
      - .address_space:  global
        .offset:         56
        .size:           8
        .value_kind:     global_buffer
      - .offset:         64
        .size:           8
        .value_kind:     by_value
      - .offset:         72
        .size:           8
        .value_kind:     by_value
      - .offset:         80
        .size:           8
        .value_kind:     by_value
      - .address_space:  global
        .offset:         88
        .size:           8
        .value_kind:     global_buffer
      - .offset:         96
        .size:           8
        .value_kind:     by_value
      - .offset:         104
        .size:           8
        .value_kind:     by_value
      - .offset:         112
        .size:           8
        .value_kind:     by_value
      - .offset:         120
        .size:           4
        .value_kind:     by_value
      - .offset:         128
        .size:           4
        .value_kind:     hidden_block_count_x
      - .offset:         132
        .size:           4
        .value_kind:     hidden_block_count_y
      - .offset:         136
        .size:           4
        .value_kind:     hidden_block_count_z
      - .offset:         140
        .size:           2
        .value_kind:     hidden_group_size_x
      - .offset:         142
        .size:           2
        .value_kind:     hidden_group_size_y
      - .offset:         144
        .size:           2
        .value_kind:     hidden_group_size_z
      - .offset:         146
        .size:           2
        .value_kind:     hidden_remainder_x
      - .offset:         148
        .size:           2
        .value_kind:     hidden_remainder_y
      - .offset:         150
        .size:           2
        .value_kind:     hidden_remainder_z
      - .offset:         168
        .size:           8
        .value_kind:     hidden_global_offset_x
      - .offset:         176
        .size:           8
        .value_kind:     hidden_global_offset_y
      - .offset:         184
        .size:           8
        .value_kind:     hidden_global_offset_z
      - .offset:         192
        .size:           2
        .value_kind:     hidden_grid_dims
    .group_segment_fixed_size: 16384
    .kernarg_segment_align: 8
    .kernarg_segment_size: 384
    .language:       OpenCL C
    .language_version:
      - 2
      - 0
    .max_flat_workgroup_size: 1024
    .name:           _ZL24rocblas_symm_hemm_kernelILb1ELb1ELi32EPK19rocblas_complex_numIfES3_PS1_EvbiiT2_T3_lllS6_lllT4_llli
    .private_segment_fixed_size: 0
    .sgpr_count:     46
    .sgpr_spill_count: 0
    .symbol:         _ZL24rocblas_symm_hemm_kernelILb1ELb1ELi32EPK19rocblas_complex_numIfES3_PS1_EvbiiT2_T3_lllS6_lllT4_llli.kd
    .uniform_work_group_size: 1
    .uses_dynamic_stack: false
    .vgpr_count:     45
    .vgpr_spill_count: 0
    .wavefront_size: 32
    .workgroup_processor_mode: 1
  - .args:
      - .offset:         0
        .size:           1
        .value_kind:     by_value
      - .offset:         4
        .size:           4
        .value_kind:     by_value
      - .offset:         8
        .size:           4
        .value_kind:     by_value
      - .offset:         12
        .size:           8
        .value_kind:     by_value
      - .address_space:  global
        .offset:         24
        .size:           8
        .value_kind:     global_buffer
      - .offset:         32
        .size:           8
        .value_kind:     by_value
      - .offset:         40
        .size:           8
        .value_kind:     by_value
      - .offset:         48
        .size:           8
        .value_kind:     by_value
      - .address_space:  global
        .offset:         56
        .size:           8
        .value_kind:     global_buffer
      - .offset:         64
        .size:           8
        .value_kind:     by_value
      - .offset:         72
        .size:           8
        .value_kind:     by_value
      - .offset:         80
        .size:           8
        .value_kind:     by_value
      - .address_space:  global
        .offset:         88
        .size:           8
        .value_kind:     global_buffer
      - .offset:         96
        .size:           8
        .value_kind:     by_value
      - .offset:         104
        .size:           8
        .value_kind:     by_value
      - .offset:         112
        .size:           8
        .value_kind:     by_value
      - .offset:         120
        .size:           4
        .value_kind:     by_value
      - .offset:         128
        .size:           4
        .value_kind:     hidden_block_count_x
      - .offset:         132
        .size:           4
        .value_kind:     hidden_block_count_y
      - .offset:         136
        .size:           4
        .value_kind:     hidden_block_count_z
      - .offset:         140
        .size:           2
        .value_kind:     hidden_group_size_x
      - .offset:         142
        .size:           2
        .value_kind:     hidden_group_size_y
      - .offset:         144
        .size:           2
        .value_kind:     hidden_group_size_z
      - .offset:         146
        .size:           2
        .value_kind:     hidden_remainder_x
      - .offset:         148
        .size:           2
        .value_kind:     hidden_remainder_y
      - .offset:         150
        .size:           2
        .value_kind:     hidden_remainder_z
      - .offset:         168
        .size:           8
        .value_kind:     hidden_global_offset_x
      - .offset:         176
        .size:           8
        .value_kind:     hidden_global_offset_y
      - .offset:         184
        .size:           8
        .value_kind:     hidden_global_offset_z
      - .offset:         192
        .size:           2
        .value_kind:     hidden_grid_dims
    .group_segment_fixed_size: 16384
    .kernarg_segment_align: 8
    .kernarg_segment_size: 384
    .language:       OpenCL C
    .language_version:
      - 2
      - 0
    .max_flat_workgroup_size: 1024
    .name:           _ZL24rocblas_symm_hemm_kernelILb1ELb0ELi32E19rocblas_complex_numIfEPKS1_PS1_EvbiiT2_T3_lllS6_lllT4_llli
    .private_segment_fixed_size: 0
    .sgpr_count:     46
    .sgpr_spill_count: 0
    .symbol:         _ZL24rocblas_symm_hemm_kernelILb1ELb0ELi32E19rocblas_complex_numIfEPKS1_PS1_EvbiiT2_T3_lllS6_lllT4_llli.kd
    .uniform_work_group_size: 1
    .uses_dynamic_stack: false
    .vgpr_count:     44
    .vgpr_spill_count: 0
    .wavefront_size: 32
    .workgroup_processor_mode: 1
  - .args:
      - .offset:         0
        .size:           1
        .value_kind:     by_value
      - .offset:         4
        .size:           4
        .value_kind:     by_value
      - .offset:         8
        .size:           4
        .value_kind:     by_value
      - .offset:         12
        .size:           8
        .value_kind:     by_value
      - .address_space:  global
        .offset:         24
        .size:           8
        .value_kind:     global_buffer
      - .offset:         32
        .size:           8
        .value_kind:     by_value
      - .offset:         40
        .size:           8
        .value_kind:     by_value
      - .offset:         48
        .size:           8
        .value_kind:     by_value
      - .address_space:  global
        .offset:         56
        .size:           8
        .value_kind:     global_buffer
      - .offset:         64
        .size:           8
        .value_kind:     by_value
      - .offset:         72
        .size:           8
        .value_kind:     by_value
      - .offset:         80
        .size:           8
        .value_kind:     by_value
      - .address_space:  global
        .offset:         88
        .size:           8
        .value_kind:     global_buffer
      - .offset:         96
        .size:           8
        .value_kind:     by_value
      - .offset:         104
        .size:           8
        .value_kind:     by_value
      - .offset:         112
        .size:           8
        .value_kind:     by_value
      - .offset:         120
        .size:           4
        .value_kind:     by_value
      - .offset:         128
        .size:           4
        .value_kind:     hidden_block_count_x
      - .offset:         132
        .size:           4
        .value_kind:     hidden_block_count_y
      - .offset:         136
        .size:           4
        .value_kind:     hidden_block_count_z
      - .offset:         140
        .size:           2
        .value_kind:     hidden_group_size_x
      - .offset:         142
        .size:           2
        .value_kind:     hidden_group_size_y
      - .offset:         144
        .size:           2
        .value_kind:     hidden_group_size_z
      - .offset:         146
        .size:           2
        .value_kind:     hidden_remainder_x
      - .offset:         148
        .size:           2
        .value_kind:     hidden_remainder_y
      - .offset:         150
        .size:           2
        .value_kind:     hidden_remainder_z
      - .offset:         168
        .size:           8
        .value_kind:     hidden_global_offset_x
      - .offset:         176
        .size:           8
        .value_kind:     hidden_global_offset_y
      - .offset:         184
        .size:           8
        .value_kind:     hidden_global_offset_z
      - .offset:         192
        .size:           2
        .value_kind:     hidden_grid_dims
    .group_segment_fixed_size: 16384
    .kernarg_segment_align: 8
    .kernarg_segment_size: 384
    .language:       OpenCL C
    .language_version:
      - 2
      - 0
    .max_flat_workgroup_size: 1024
    .name:           _ZL24rocblas_symm_hemm_kernelILb1ELb1ELi32E19rocblas_complex_numIfEPKS1_PS1_EvbiiT2_T3_lllS6_lllT4_llli
    .private_segment_fixed_size: 0
    .sgpr_count:     46
    .sgpr_spill_count: 0
    .symbol:         _ZL24rocblas_symm_hemm_kernelILb1ELb1ELi32E19rocblas_complex_numIfEPKS1_PS1_EvbiiT2_T3_lllS6_lllT4_llli.kd
    .uniform_work_group_size: 1
    .uses_dynamic_stack: false
    .vgpr_count:     45
    .vgpr_spill_count: 0
    .wavefront_size: 32
    .workgroup_processor_mode: 1
  - .args:
      - .offset:         0
        .size:           1
        .value_kind:     by_value
      - .offset:         4
        .size:           4
        .value_kind:     by_value
      - .offset:         8
        .size:           4
        .value_kind:     by_value
      - .address_space:  global
        .offset:         16
        .size:           8
        .value_kind:     global_buffer
      - .address_space:  global
        .offset:         24
        .size:           8
        .value_kind:     global_buffer
      - .offset:         32
        .size:           8
        .value_kind:     by_value
      - .offset:         40
        .size:           8
        .value_kind:     by_value
      - .offset:         48
        .size:           8
        .value_kind:     by_value
      - .address_space:  global
        .offset:         56
        .size:           8
        .value_kind:     global_buffer
      - .offset:         64
        .size:           8
        .value_kind:     by_value
      - .offset:         72
        .size:           8
        .value_kind:     by_value
      - .offset:         80
        .size:           8
        .value_kind:     by_value
      - .address_space:  global
        .offset:         88
        .size:           8
        .value_kind:     global_buffer
      - .offset:         96
        .size:           8
        .value_kind:     by_value
      - .offset:         104
        .size:           8
        .value_kind:     by_value
      - .offset:         112
        .size:           8
        .value_kind:     by_value
      - .offset:         120
        .size:           4
        .value_kind:     by_value
      - .offset:         128
        .size:           4
        .value_kind:     hidden_block_count_x
      - .offset:         132
        .size:           4
        .value_kind:     hidden_block_count_y
      - .offset:         136
        .size:           4
        .value_kind:     hidden_block_count_z
      - .offset:         140
        .size:           2
        .value_kind:     hidden_group_size_x
      - .offset:         142
        .size:           2
        .value_kind:     hidden_group_size_y
      - .offset:         144
        .size:           2
        .value_kind:     hidden_group_size_z
      - .offset:         146
        .size:           2
        .value_kind:     hidden_remainder_x
      - .offset:         148
        .size:           2
        .value_kind:     hidden_remainder_y
      - .offset:         150
        .size:           2
        .value_kind:     hidden_remainder_z
      - .offset:         168
        .size:           8
        .value_kind:     hidden_global_offset_x
      - .offset:         176
        .size:           8
        .value_kind:     hidden_global_offset_y
      - .offset:         184
        .size:           8
        .value_kind:     hidden_global_offset_z
      - .offset:         192
        .size:           2
        .value_kind:     hidden_grid_dims
    .group_segment_fixed_size: 32768
    .kernarg_segment_align: 8
    .kernarg_segment_size: 384
    .language:       OpenCL C
    .language_version:
      - 2
      - 0
    .max_flat_workgroup_size: 1024
    .name:           _ZL24rocblas_symm_hemm_kernelILb1ELb0ELi32EPK19rocblas_complex_numIdES3_PS1_EvbiiT2_T3_lllS6_lllT4_llli
    .private_segment_fixed_size: 0
    .sgpr_count:     50
    .sgpr_spill_count: 0
    .symbol:         _ZL24rocblas_symm_hemm_kernelILb1ELb0ELi32EPK19rocblas_complex_numIdES3_PS1_EvbiiT2_T3_lllS6_lllT4_llli.kd
    .uniform_work_group_size: 1
    .uses_dynamic_stack: false
    .vgpr_count:     61
    .vgpr_spill_count: 0
    .wavefront_size: 32
    .workgroup_processor_mode: 1
  - .args:
      - .offset:         0
        .size:           1
        .value_kind:     by_value
      - .offset:         4
        .size:           4
        .value_kind:     by_value
      - .offset:         8
        .size:           4
        .value_kind:     by_value
      - .address_space:  global
        .offset:         16
        .size:           8
        .value_kind:     global_buffer
      - .address_space:  global
        .offset:         24
        .size:           8
        .value_kind:     global_buffer
      - .offset:         32
        .size:           8
        .value_kind:     by_value
      - .offset:         40
        .size:           8
        .value_kind:     by_value
      - .offset:         48
        .size:           8
        .value_kind:     by_value
      - .address_space:  global
        .offset:         56
        .size:           8
        .value_kind:     global_buffer
      - .offset:         64
        .size:           8
        .value_kind:     by_value
      - .offset:         72
        .size:           8
        .value_kind:     by_value
      - .offset:         80
        .size:           8
        .value_kind:     by_value
      - .address_space:  global
        .offset:         88
        .size:           8
        .value_kind:     global_buffer
      - .offset:         96
        .size:           8
        .value_kind:     by_value
      - .offset:         104
        .size:           8
        .value_kind:     by_value
      - .offset:         112
        .size:           8
        .value_kind:     by_value
      - .offset:         120
        .size:           4
        .value_kind:     by_value
      - .offset:         128
        .size:           4
        .value_kind:     hidden_block_count_x
      - .offset:         132
        .size:           4
        .value_kind:     hidden_block_count_y
      - .offset:         136
        .size:           4
        .value_kind:     hidden_block_count_z
      - .offset:         140
        .size:           2
        .value_kind:     hidden_group_size_x
      - .offset:         142
        .size:           2
        .value_kind:     hidden_group_size_y
      - .offset:         144
        .size:           2
        .value_kind:     hidden_group_size_z
      - .offset:         146
        .size:           2
        .value_kind:     hidden_remainder_x
      - .offset:         148
        .size:           2
        .value_kind:     hidden_remainder_y
      - .offset:         150
        .size:           2
        .value_kind:     hidden_remainder_z
      - .offset:         168
        .size:           8
        .value_kind:     hidden_global_offset_x
      - .offset:         176
        .size:           8
        .value_kind:     hidden_global_offset_y
      - .offset:         184
        .size:           8
        .value_kind:     hidden_global_offset_z
      - .offset:         192
        .size:           2
        .value_kind:     hidden_grid_dims
    .group_segment_fixed_size: 32768
    .kernarg_segment_align: 8
    .kernarg_segment_size: 384
    .language:       OpenCL C
    .language_version:
      - 2
      - 0
    .max_flat_workgroup_size: 1024
    .name:           _ZL24rocblas_symm_hemm_kernelILb1ELb1ELi32EPK19rocblas_complex_numIdES3_PS1_EvbiiT2_T3_lllS6_lllT4_llli
    .private_segment_fixed_size: 0
    .sgpr_count:     50
    .sgpr_spill_count: 0
    .symbol:         _ZL24rocblas_symm_hemm_kernelILb1ELb1ELi32EPK19rocblas_complex_numIdES3_PS1_EvbiiT2_T3_lllS6_lllT4_llli.kd
    .uniform_work_group_size: 1
    .uses_dynamic_stack: false
    .vgpr_count:     61
    .vgpr_spill_count: 0
    .wavefront_size: 32
    .workgroup_processor_mode: 1
  - .args:
      - .offset:         0
        .size:           1
        .value_kind:     by_value
      - .offset:         4
        .size:           4
        .value_kind:     by_value
      - .offset:         8
        .size:           4
        .value_kind:     by_value
      - .offset:         16
        .size:           16
        .value_kind:     by_value
      - .address_space:  global
        .offset:         32
        .size:           8
        .value_kind:     global_buffer
      - .offset:         40
        .size:           8
        .value_kind:     by_value
      - .offset:         48
        .size:           8
        .value_kind:     by_value
      - .offset:         56
        .size:           8
        .value_kind:     by_value
      - .address_space:  global
        .offset:         64
        .size:           8
        .value_kind:     global_buffer
      - .offset:         72
        .size:           8
        .value_kind:     by_value
      - .offset:         80
        .size:           8
        .value_kind:     by_value
      - .offset:         88
        .size:           8
        .value_kind:     by_value
      - .address_space:  global
        .offset:         96
        .size:           8
        .value_kind:     global_buffer
      - .offset:         104
        .size:           8
        .value_kind:     by_value
      - .offset:         112
        .size:           8
        .value_kind:     by_value
      - .offset:         120
        .size:           8
        .value_kind:     by_value
      - .offset:         128
        .size:           4
        .value_kind:     by_value
      - .offset:         136
        .size:           4
        .value_kind:     hidden_block_count_x
      - .offset:         140
        .size:           4
        .value_kind:     hidden_block_count_y
      - .offset:         144
        .size:           4
        .value_kind:     hidden_block_count_z
      - .offset:         148
        .size:           2
        .value_kind:     hidden_group_size_x
      - .offset:         150
        .size:           2
        .value_kind:     hidden_group_size_y
      - .offset:         152
        .size:           2
        .value_kind:     hidden_group_size_z
      - .offset:         154
        .size:           2
        .value_kind:     hidden_remainder_x
      - .offset:         156
        .size:           2
        .value_kind:     hidden_remainder_y
      - .offset:         158
        .size:           2
        .value_kind:     hidden_remainder_z
      - .offset:         176
        .size:           8
        .value_kind:     hidden_global_offset_x
      - .offset:         184
        .size:           8
        .value_kind:     hidden_global_offset_y
      - .offset:         192
        .size:           8
        .value_kind:     hidden_global_offset_z
      - .offset:         200
        .size:           2
        .value_kind:     hidden_grid_dims
    .group_segment_fixed_size: 32768
    .kernarg_segment_align: 8
    .kernarg_segment_size: 392
    .language:       OpenCL C
    .language_version:
      - 2
      - 0
    .max_flat_workgroup_size: 1024
    .name:           _ZL24rocblas_symm_hemm_kernelILb1ELb0ELi32E19rocblas_complex_numIdEPKS1_PS1_EvbiiT2_T3_lllS6_lllT4_llli
    .private_segment_fixed_size: 0
    .sgpr_count:     50
    .sgpr_spill_count: 0
    .symbol:         _ZL24rocblas_symm_hemm_kernelILb1ELb0ELi32E19rocblas_complex_numIdEPKS1_PS1_EvbiiT2_T3_lllS6_lllT4_llli.kd
    .uniform_work_group_size: 1
    .uses_dynamic_stack: false
    .vgpr_count:     61
    .vgpr_spill_count: 0
    .wavefront_size: 32
    .workgroup_processor_mode: 1
  - .args:
      - .offset:         0
        .size:           1
        .value_kind:     by_value
      - .offset:         4
        .size:           4
        .value_kind:     by_value
      - .offset:         8
        .size:           4
        .value_kind:     by_value
      - .offset:         16
        .size:           16
        .value_kind:     by_value
      - .address_space:  global
        .offset:         32
        .size:           8
        .value_kind:     global_buffer
      - .offset:         40
        .size:           8
        .value_kind:     by_value
      - .offset:         48
        .size:           8
        .value_kind:     by_value
      - .offset:         56
        .size:           8
        .value_kind:     by_value
      - .address_space:  global
        .offset:         64
        .size:           8
        .value_kind:     global_buffer
      - .offset:         72
        .size:           8
        .value_kind:     by_value
      - .offset:         80
        .size:           8
        .value_kind:     by_value
      - .offset:         88
        .size:           8
        .value_kind:     by_value
      - .address_space:  global
        .offset:         96
        .size:           8
        .value_kind:     global_buffer
      - .offset:         104
        .size:           8
        .value_kind:     by_value
      - .offset:         112
        .size:           8
        .value_kind:     by_value
      - .offset:         120
        .size:           8
        .value_kind:     by_value
      - .offset:         128
        .size:           4
        .value_kind:     by_value
      - .offset:         136
        .size:           4
        .value_kind:     hidden_block_count_x
      - .offset:         140
        .size:           4
        .value_kind:     hidden_block_count_y
      - .offset:         144
        .size:           4
        .value_kind:     hidden_block_count_z
      - .offset:         148
        .size:           2
        .value_kind:     hidden_group_size_x
      - .offset:         150
        .size:           2
        .value_kind:     hidden_group_size_y
      - .offset:         152
        .size:           2
        .value_kind:     hidden_group_size_z
      - .offset:         154
        .size:           2
        .value_kind:     hidden_remainder_x
      - .offset:         156
        .size:           2
        .value_kind:     hidden_remainder_y
      - .offset:         158
        .size:           2
        .value_kind:     hidden_remainder_z
      - .offset:         176
        .size:           8
        .value_kind:     hidden_global_offset_x
      - .offset:         184
        .size:           8
        .value_kind:     hidden_global_offset_y
      - .offset:         192
        .size:           8
        .value_kind:     hidden_global_offset_z
      - .offset:         200
        .size:           2
        .value_kind:     hidden_grid_dims
    .group_segment_fixed_size: 32768
    .kernarg_segment_align: 8
    .kernarg_segment_size: 392
    .language:       OpenCL C
    .language_version:
      - 2
      - 0
    .max_flat_workgroup_size: 1024
    .name:           _ZL24rocblas_symm_hemm_kernelILb1ELb1ELi32E19rocblas_complex_numIdEPKS1_PS1_EvbiiT2_T3_lllS6_lllT4_llli
    .private_segment_fixed_size: 0
    .sgpr_count:     50
    .sgpr_spill_count: 0
    .symbol:         _ZL24rocblas_symm_hemm_kernelILb1ELb1ELi32E19rocblas_complex_numIdEPKS1_PS1_EvbiiT2_T3_lllS6_lllT4_llli.kd
    .uniform_work_group_size: 1
    .uses_dynamic_stack: false
    .vgpr_count:     61
    .vgpr_spill_count: 0
    .wavefront_size: 32
    .workgroup_processor_mode: 1
  - .args:
      - .offset:         0
        .size:           4
        .value_kind:     by_value
      - .offset:         4
        .size:           4
        .value_kind:     by_value
      - .address_space:  global
        .offset:         8
        .size:           8
        .value_kind:     global_buffer
      - .address_space:  global
        .offset:         16
        .size:           8
        .value_kind:     global_buffer
      - .offset:         24
        .size:           8
        .value_kind:     by_value
      - .offset:         32
        .size:           8
        .value_kind:     by_value
      - .offset:         40
        .size:           8
        .value_kind:     by_value
      - .offset:         48
        .size:           4
        .value_kind:     by_value
      - .offset:         56
        .size:           4
        .value_kind:     hidden_block_count_x
      - .offset:         60
        .size:           4
        .value_kind:     hidden_block_count_y
      - .offset:         64
        .size:           4
        .value_kind:     hidden_block_count_z
      - .offset:         68
        .size:           2
        .value_kind:     hidden_group_size_x
      - .offset:         70
        .size:           2
        .value_kind:     hidden_group_size_y
      - .offset:         72
        .size:           2
        .value_kind:     hidden_group_size_z
      - .offset:         74
        .size:           2
        .value_kind:     hidden_remainder_x
      - .offset:         76
        .size:           2
        .value_kind:     hidden_remainder_y
      - .offset:         78
        .size:           2
        .value_kind:     hidden_remainder_z
      - .offset:         96
        .size:           8
        .value_kind:     hidden_global_offset_x
      - .offset:         104
        .size:           8
        .value_kind:     hidden_global_offset_y
      - .offset:         112
        .size:           8
        .value_kind:     hidden_global_offset_z
      - .offset:         120
        .size:           2
        .value_kind:     hidden_grid_dims
    .group_segment_fixed_size: 0
    .kernarg_segment_align: 8
    .kernarg_segment_size: 312
    .language:       OpenCL C
    .language_version:
      - 2
      - 0
    .max_flat_workgroup_size: 1024
    .name:           _ZL25rocblas_symm_scale_kernelILi128ELi8EPKfPKPfEviiT1_T2_llli
    .private_segment_fixed_size: 0
    .sgpr_count:     22
    .sgpr_spill_count: 0
    .symbol:         _ZL25rocblas_symm_scale_kernelILi128ELi8EPKfPKPfEviiT1_T2_llli.kd
    .uniform_work_group_size: 1
    .uses_dynamic_stack: false
    .vgpr_count:     8
    .vgpr_spill_count: 0
    .wavefront_size: 32
    .workgroup_processor_mode: 1
  - .args:
      - .offset:         0
        .size:           1
        .value_kind:     by_value
      - .offset:         4
        .size:           4
        .value_kind:     by_value
      - .offset:         8
        .size:           4
        .value_kind:     by_value
      - .address_space:  global
        .offset:         16
        .size:           8
        .value_kind:     global_buffer
      - .address_space:  global
        .offset:         24
        .size:           8
        .value_kind:     global_buffer
      - .offset:         32
        .size:           8
        .value_kind:     by_value
      - .offset:         40
        .size:           8
        .value_kind:     by_value
      - .offset:         48
        .size:           8
        .value_kind:     by_value
      - .address_space:  global
        .offset:         56
        .size:           8
        .value_kind:     global_buffer
      - .offset:         64
        .size:           8
        .value_kind:     by_value
      - .offset:         72
        .size:           8
        .value_kind:     by_value
      - .offset:         80
        .size:           8
        .value_kind:     by_value
      - .address_space:  global
        .offset:         88
        .size:           8
        .value_kind:     global_buffer
      - .offset:         96
        .size:           8
        .value_kind:     by_value
      - .offset:         104
        .size:           8
        .value_kind:     by_value
      - .offset:         112
        .size:           8
        .value_kind:     by_value
      - .offset:         120
        .size:           4
        .value_kind:     by_value
      - .offset:         128
        .size:           4
        .value_kind:     hidden_block_count_x
      - .offset:         132
        .size:           4
        .value_kind:     hidden_block_count_y
      - .offset:         136
        .size:           4
        .value_kind:     hidden_block_count_z
      - .offset:         140
        .size:           2
        .value_kind:     hidden_group_size_x
      - .offset:         142
        .size:           2
        .value_kind:     hidden_group_size_y
      - .offset:         144
        .size:           2
        .value_kind:     hidden_group_size_z
      - .offset:         146
        .size:           2
        .value_kind:     hidden_remainder_x
      - .offset:         148
        .size:           2
        .value_kind:     hidden_remainder_y
      - .offset:         150
        .size:           2
        .value_kind:     hidden_remainder_z
      - .offset:         168
        .size:           8
        .value_kind:     hidden_global_offset_x
      - .offset:         176
        .size:           8
        .value_kind:     hidden_global_offset_y
      - .offset:         184
        .size:           8
        .value_kind:     hidden_global_offset_z
      - .offset:         192
        .size:           2
        .value_kind:     hidden_grid_dims
    .group_segment_fixed_size: 8192
    .kernarg_segment_align: 8
    .kernarg_segment_size: 384
    .language:       OpenCL C
    .language_version:
      - 2
      - 0
    .max_flat_workgroup_size: 1024
    .name:           _ZL24rocblas_symm_hemm_kernelILb0ELb0ELi32EPKfPKS1_PKPfEvbiiT2_T3_lllS8_lllT4_llli
    .private_segment_fixed_size: 0
    .sgpr_count:     32
    .sgpr_spill_count: 0
    .symbol:         _ZL24rocblas_symm_hemm_kernelILb0ELb0ELi32EPKfPKS1_PKPfEvbiiT2_T3_lllS8_lllT4_llli.kd
    .uniform_work_group_size: 1
    .uses_dynamic_stack: false
    .vgpr_count:     32
    .vgpr_spill_count: 0
    .wavefront_size: 32
    .workgroup_processor_mode: 1
  - .args:
      - .offset:         0
        .size:           1
        .value_kind:     by_value
      - .offset:         4
        .size:           4
        .value_kind:     by_value
      - .offset:         8
        .size:           4
        .value_kind:     by_value
      - .address_space:  global
        .offset:         16
        .size:           8
        .value_kind:     global_buffer
      - .address_space:  global
        .offset:         24
        .size:           8
        .value_kind:     global_buffer
      - .offset:         32
        .size:           8
        .value_kind:     by_value
      - .offset:         40
        .size:           8
        .value_kind:     by_value
      - .offset:         48
        .size:           8
        .value_kind:     by_value
      - .address_space:  global
        .offset:         56
        .size:           8
        .value_kind:     global_buffer
      - .offset:         64
        .size:           8
        .value_kind:     by_value
      - .offset:         72
        .size:           8
        .value_kind:     by_value
      - .offset:         80
        .size:           8
        .value_kind:     by_value
      - .address_space:  global
        .offset:         88
        .size:           8
        .value_kind:     global_buffer
      - .offset:         96
        .size:           8
        .value_kind:     by_value
      - .offset:         104
        .size:           8
        .value_kind:     by_value
      - .offset:         112
        .size:           8
        .value_kind:     by_value
      - .offset:         120
        .size:           4
        .value_kind:     by_value
      - .offset:         128
        .size:           4
        .value_kind:     hidden_block_count_x
      - .offset:         132
        .size:           4
        .value_kind:     hidden_block_count_y
      - .offset:         136
        .size:           4
        .value_kind:     hidden_block_count_z
      - .offset:         140
        .size:           2
        .value_kind:     hidden_group_size_x
      - .offset:         142
        .size:           2
        .value_kind:     hidden_group_size_y
      - .offset:         144
        .size:           2
        .value_kind:     hidden_group_size_z
      - .offset:         146
        .size:           2
        .value_kind:     hidden_remainder_x
      - .offset:         148
        .size:           2
        .value_kind:     hidden_remainder_y
      - .offset:         150
        .size:           2
        .value_kind:     hidden_remainder_z
      - .offset:         168
        .size:           8
        .value_kind:     hidden_global_offset_x
      - .offset:         176
        .size:           8
        .value_kind:     hidden_global_offset_y
      - .offset:         184
        .size:           8
        .value_kind:     hidden_global_offset_z
      - .offset:         192
        .size:           2
        .value_kind:     hidden_grid_dims
    .group_segment_fixed_size: 8192
    .kernarg_segment_align: 8
    .kernarg_segment_size: 384
    .language:       OpenCL C
    .language_version:
      - 2
      - 0
    .max_flat_workgroup_size: 1024
    .name:           _ZL24rocblas_symm_hemm_kernelILb0ELb1ELi32EPKfPKS1_PKPfEvbiiT2_T3_lllS8_lllT4_llli
    .private_segment_fixed_size: 0
    .sgpr_count:     32
    .sgpr_spill_count: 0
    .symbol:         _ZL24rocblas_symm_hemm_kernelILb0ELb1ELi32EPKfPKS1_PKPfEvbiiT2_T3_lllS8_lllT4_llli.kd
    .uniform_work_group_size: 1
    .uses_dynamic_stack: false
    .vgpr_count:     32
    .vgpr_spill_count: 0
    .wavefront_size: 32
    .workgroup_processor_mode: 1
  - .args:
      - .offset:         0
        .size:           4
        .value_kind:     by_value
      - .offset:         4
        .size:           4
        .value_kind:     by_value
      - .offset:         8
        .size:           4
        .value_kind:     by_value
      - .address_space:  global
        .offset:         16
        .size:           8
        .value_kind:     global_buffer
      - .offset:         24
        .size:           8
        .value_kind:     by_value
      - .offset:         32
        .size:           8
        .value_kind:     by_value
      - .offset:         40
        .size:           8
        .value_kind:     by_value
      - .offset:         48
        .size:           4
        .value_kind:     by_value
      - .offset:         56
        .size:           4
        .value_kind:     hidden_block_count_x
      - .offset:         60
        .size:           4
        .value_kind:     hidden_block_count_y
      - .offset:         64
        .size:           4
        .value_kind:     hidden_block_count_z
      - .offset:         68
        .size:           2
        .value_kind:     hidden_group_size_x
      - .offset:         70
        .size:           2
        .value_kind:     hidden_group_size_y
      - .offset:         72
        .size:           2
        .value_kind:     hidden_group_size_z
      - .offset:         74
        .size:           2
        .value_kind:     hidden_remainder_x
      - .offset:         76
        .size:           2
        .value_kind:     hidden_remainder_y
      - .offset:         78
        .size:           2
        .value_kind:     hidden_remainder_z
      - .offset:         96
        .size:           8
        .value_kind:     hidden_global_offset_x
      - .offset:         104
        .size:           8
        .value_kind:     hidden_global_offset_y
      - .offset:         112
        .size:           8
        .value_kind:     hidden_global_offset_z
      - .offset:         120
        .size:           2
        .value_kind:     hidden_grid_dims
    .group_segment_fixed_size: 0
    .kernarg_segment_align: 8
    .kernarg_segment_size: 312
    .language:       OpenCL C
    .language_version:
      - 2
      - 0
    .max_flat_workgroup_size: 1024
    .name:           _ZL25rocblas_symm_scale_kernelILi128ELi8EfPKPfEviiT1_T2_llli
    .private_segment_fixed_size: 0
    .sgpr_count:     18
    .sgpr_spill_count: 0
    .symbol:         _ZL25rocblas_symm_scale_kernelILi128ELi8EfPKPfEviiT1_T2_llli.kd
    .uniform_work_group_size: 1
    .uses_dynamic_stack: false
    .vgpr_count:     8
    .vgpr_spill_count: 0
    .wavefront_size: 32
    .workgroup_processor_mode: 1
  - .args:
      - .offset:         0
        .size:           1
        .value_kind:     by_value
      - .offset:         4
        .size:           4
        .value_kind:     by_value
      - .offset:         8
        .size:           4
        .value_kind:     by_value
      - .offset:         12
        .size:           4
        .value_kind:     by_value
      - .address_space:  global
        .offset:         16
        .size:           8
        .value_kind:     global_buffer
      - .offset:         24
        .size:           8
        .value_kind:     by_value
      - .offset:         32
        .size:           8
        .value_kind:     by_value
      - .offset:         40
        .size:           8
        .value_kind:     by_value
      - .address_space:  global
        .offset:         48
        .size:           8
        .value_kind:     global_buffer
      - .offset:         56
        .size:           8
        .value_kind:     by_value
      - .offset:         64
        .size:           8
        .value_kind:     by_value
      - .offset:         72
        .size:           8
        .value_kind:     by_value
      - .address_space:  global
        .offset:         80
        .size:           8
        .value_kind:     global_buffer
      - .offset:         88
        .size:           8
        .value_kind:     by_value
      - .offset:         96
        .size:           8
        .value_kind:     by_value
      - .offset:         104
        .size:           8
        .value_kind:     by_value
      - .offset:         112
        .size:           4
        .value_kind:     by_value
      - .offset:         120
        .size:           4
        .value_kind:     hidden_block_count_x
      - .offset:         124
        .size:           4
        .value_kind:     hidden_block_count_y
      - .offset:         128
        .size:           4
        .value_kind:     hidden_block_count_z
      - .offset:         132
        .size:           2
        .value_kind:     hidden_group_size_x
      - .offset:         134
        .size:           2
        .value_kind:     hidden_group_size_y
      - .offset:         136
        .size:           2
        .value_kind:     hidden_group_size_z
      - .offset:         138
        .size:           2
        .value_kind:     hidden_remainder_x
      - .offset:         140
        .size:           2
        .value_kind:     hidden_remainder_y
      - .offset:         142
        .size:           2
        .value_kind:     hidden_remainder_z
      - .offset:         160
        .size:           8
        .value_kind:     hidden_global_offset_x
      - .offset:         168
        .size:           8
        .value_kind:     hidden_global_offset_y
      - .offset:         176
        .size:           8
        .value_kind:     hidden_global_offset_z
      - .offset:         184
        .size:           2
        .value_kind:     hidden_grid_dims
    .group_segment_fixed_size: 8192
    .kernarg_segment_align: 8
    .kernarg_segment_size: 376
    .language:       OpenCL C
    .language_version:
      - 2
      - 0
    .max_flat_workgroup_size: 1024
    .name:           _ZL24rocblas_symm_hemm_kernelILb0ELb0ELi32EfPKPKfPKPfEvbiiT2_T3_lllS8_lllT4_llli
    .private_segment_fixed_size: 0
    .sgpr_count:     30
    .sgpr_spill_count: 0
    .symbol:         _ZL24rocblas_symm_hemm_kernelILb0ELb0ELi32EfPKPKfPKPfEvbiiT2_T3_lllS8_lllT4_llli.kd
    .uniform_work_group_size: 1
    .uses_dynamic_stack: false
    .vgpr_count:     32
    .vgpr_spill_count: 0
    .wavefront_size: 32
    .workgroup_processor_mode: 1
  - .args:
      - .offset:         0
        .size:           1
        .value_kind:     by_value
      - .offset:         4
        .size:           4
        .value_kind:     by_value
      - .offset:         8
        .size:           4
        .value_kind:     by_value
      - .offset:         12
        .size:           4
        .value_kind:     by_value
      - .address_space:  global
        .offset:         16
        .size:           8
        .value_kind:     global_buffer
      - .offset:         24
        .size:           8
        .value_kind:     by_value
      - .offset:         32
        .size:           8
        .value_kind:     by_value
      - .offset:         40
        .size:           8
        .value_kind:     by_value
      - .address_space:  global
        .offset:         48
        .size:           8
        .value_kind:     global_buffer
      - .offset:         56
        .size:           8
        .value_kind:     by_value
      - .offset:         64
        .size:           8
        .value_kind:     by_value
      - .offset:         72
        .size:           8
        .value_kind:     by_value
      - .address_space:  global
        .offset:         80
        .size:           8
        .value_kind:     global_buffer
      - .offset:         88
        .size:           8
        .value_kind:     by_value
      - .offset:         96
        .size:           8
        .value_kind:     by_value
      - .offset:         104
        .size:           8
        .value_kind:     by_value
      - .offset:         112
        .size:           4
        .value_kind:     by_value
      - .offset:         120
        .size:           4
        .value_kind:     hidden_block_count_x
      - .offset:         124
        .size:           4
        .value_kind:     hidden_block_count_y
      - .offset:         128
        .size:           4
        .value_kind:     hidden_block_count_z
      - .offset:         132
        .size:           2
        .value_kind:     hidden_group_size_x
      - .offset:         134
        .size:           2
        .value_kind:     hidden_group_size_y
      - .offset:         136
        .size:           2
        .value_kind:     hidden_group_size_z
      - .offset:         138
        .size:           2
        .value_kind:     hidden_remainder_x
      - .offset:         140
        .size:           2
        .value_kind:     hidden_remainder_y
      - .offset:         142
        .size:           2
        .value_kind:     hidden_remainder_z
      - .offset:         160
        .size:           8
        .value_kind:     hidden_global_offset_x
      - .offset:         168
        .size:           8
        .value_kind:     hidden_global_offset_y
      - .offset:         176
        .size:           8
        .value_kind:     hidden_global_offset_z
      - .offset:         184
        .size:           2
        .value_kind:     hidden_grid_dims
    .group_segment_fixed_size: 8192
    .kernarg_segment_align: 8
    .kernarg_segment_size: 376
    .language:       OpenCL C
    .language_version:
      - 2
      - 0
    .max_flat_workgroup_size: 1024
    .name:           _ZL24rocblas_symm_hemm_kernelILb0ELb1ELi32EfPKPKfPKPfEvbiiT2_T3_lllS8_lllT4_llli
    .private_segment_fixed_size: 0
    .sgpr_count:     32
    .sgpr_spill_count: 0
    .symbol:         _ZL24rocblas_symm_hemm_kernelILb0ELb1ELi32EfPKPKfPKPfEvbiiT2_T3_lllS8_lllT4_llli.kd
    .uniform_work_group_size: 1
    .uses_dynamic_stack: false
    .vgpr_count:     32
    .vgpr_spill_count: 0
    .wavefront_size: 32
    .workgroup_processor_mode: 1
  - .args:
      - .offset:         0
        .size:           4
        .value_kind:     by_value
      - .offset:         4
        .size:           4
        .value_kind:     by_value
      - .address_space:  global
        .offset:         8
        .size:           8
        .value_kind:     global_buffer
      - .address_space:  global
        .offset:         16
        .size:           8
        .value_kind:     global_buffer
      - .offset:         24
        .size:           8
        .value_kind:     by_value
      - .offset:         32
        .size:           8
        .value_kind:     by_value
      - .offset:         40
        .size:           8
        .value_kind:     by_value
      - .offset:         48
        .size:           4
        .value_kind:     by_value
      - .offset:         56
        .size:           4
        .value_kind:     hidden_block_count_x
      - .offset:         60
        .size:           4
        .value_kind:     hidden_block_count_y
      - .offset:         64
        .size:           4
        .value_kind:     hidden_block_count_z
      - .offset:         68
        .size:           2
        .value_kind:     hidden_group_size_x
      - .offset:         70
        .size:           2
        .value_kind:     hidden_group_size_y
      - .offset:         72
        .size:           2
        .value_kind:     hidden_group_size_z
      - .offset:         74
        .size:           2
        .value_kind:     hidden_remainder_x
      - .offset:         76
        .size:           2
        .value_kind:     hidden_remainder_y
      - .offset:         78
        .size:           2
        .value_kind:     hidden_remainder_z
      - .offset:         96
        .size:           8
        .value_kind:     hidden_global_offset_x
      - .offset:         104
        .size:           8
        .value_kind:     hidden_global_offset_y
      - .offset:         112
        .size:           8
        .value_kind:     hidden_global_offset_z
      - .offset:         120
        .size:           2
        .value_kind:     hidden_grid_dims
    .group_segment_fixed_size: 0
    .kernarg_segment_align: 8
    .kernarg_segment_size: 312
    .language:       OpenCL C
    .language_version:
      - 2
      - 0
    .max_flat_workgroup_size: 1024
    .name:           _ZL25rocblas_symm_scale_kernelILi128ELi8EPKdPKPdEviiT1_T2_llli
    .private_segment_fixed_size: 0
    .sgpr_count:     22
    .sgpr_spill_count: 0
    .symbol:         _ZL25rocblas_symm_scale_kernelILi128ELi8EPKdPKPdEviiT1_T2_llli.kd
    .uniform_work_group_size: 1
    .uses_dynamic_stack: false
    .vgpr_count:     8
    .vgpr_spill_count: 0
    .wavefront_size: 32
    .workgroup_processor_mode: 1
  - .args:
      - .offset:         0
        .size:           1
        .value_kind:     by_value
      - .offset:         4
        .size:           4
        .value_kind:     by_value
      - .offset:         8
        .size:           4
        .value_kind:     by_value
      - .address_space:  global
        .offset:         16
        .size:           8
        .value_kind:     global_buffer
      - .address_space:  global
        .offset:         24
        .size:           8
        .value_kind:     global_buffer
      - .offset:         32
        .size:           8
        .value_kind:     by_value
      - .offset:         40
        .size:           8
        .value_kind:     by_value
      - .offset:         48
        .size:           8
        .value_kind:     by_value
      - .address_space:  global
        .offset:         56
        .size:           8
        .value_kind:     global_buffer
      - .offset:         64
        .size:           8
        .value_kind:     by_value
      - .offset:         72
        .size:           8
        .value_kind:     by_value
      - .offset:         80
        .size:           8
        .value_kind:     by_value
      - .address_space:  global
        .offset:         88
        .size:           8
        .value_kind:     global_buffer
      - .offset:         96
        .size:           8
        .value_kind:     by_value
      - .offset:         104
        .size:           8
        .value_kind:     by_value
      - .offset:         112
        .size:           8
        .value_kind:     by_value
      - .offset:         120
        .size:           4
        .value_kind:     by_value
      - .offset:         128
        .size:           4
        .value_kind:     hidden_block_count_x
      - .offset:         132
        .size:           4
        .value_kind:     hidden_block_count_y
      - .offset:         136
        .size:           4
        .value_kind:     hidden_block_count_z
      - .offset:         140
        .size:           2
        .value_kind:     hidden_group_size_x
      - .offset:         142
        .size:           2
        .value_kind:     hidden_group_size_y
      - .offset:         144
        .size:           2
        .value_kind:     hidden_group_size_z
      - .offset:         146
        .size:           2
        .value_kind:     hidden_remainder_x
      - .offset:         148
        .size:           2
        .value_kind:     hidden_remainder_y
      - .offset:         150
        .size:           2
        .value_kind:     hidden_remainder_z
      - .offset:         168
        .size:           8
        .value_kind:     hidden_global_offset_x
      - .offset:         176
        .size:           8
        .value_kind:     hidden_global_offset_y
      - .offset:         184
        .size:           8
        .value_kind:     hidden_global_offset_z
      - .offset:         192
        .size:           2
        .value_kind:     hidden_grid_dims
    .group_segment_fixed_size: 16384
    .kernarg_segment_align: 8
    .kernarg_segment_size: 384
    .language:       OpenCL C
    .language_version:
      - 2
      - 0
    .max_flat_workgroup_size: 1024
    .name:           _ZL24rocblas_symm_hemm_kernelILb0ELb0ELi32EPKdPKS1_PKPdEvbiiT2_T3_lllS8_lllT4_llli
    .private_segment_fixed_size: 0
    .sgpr_count:     32
    .sgpr_spill_count: 0
    .symbol:         _ZL24rocblas_symm_hemm_kernelILb0ELb0ELi32EPKdPKS1_PKPdEvbiiT2_T3_lllS8_lllT4_llli.kd
    .uniform_work_group_size: 1
    .uses_dynamic_stack: false
    .vgpr_count:     33
    .vgpr_spill_count: 0
    .wavefront_size: 32
    .workgroup_processor_mode: 1
  - .args:
      - .offset:         0
        .size:           1
        .value_kind:     by_value
      - .offset:         4
        .size:           4
        .value_kind:     by_value
      - .offset:         8
        .size:           4
        .value_kind:     by_value
      - .address_space:  global
        .offset:         16
        .size:           8
        .value_kind:     global_buffer
      - .address_space:  global
        .offset:         24
        .size:           8
        .value_kind:     global_buffer
      - .offset:         32
        .size:           8
        .value_kind:     by_value
      - .offset:         40
        .size:           8
        .value_kind:     by_value
      - .offset:         48
        .size:           8
        .value_kind:     by_value
      - .address_space:  global
        .offset:         56
        .size:           8
        .value_kind:     global_buffer
      - .offset:         64
        .size:           8
        .value_kind:     by_value
      - .offset:         72
        .size:           8
        .value_kind:     by_value
      - .offset:         80
        .size:           8
        .value_kind:     by_value
      - .address_space:  global
        .offset:         88
        .size:           8
        .value_kind:     global_buffer
      - .offset:         96
        .size:           8
        .value_kind:     by_value
      - .offset:         104
        .size:           8
        .value_kind:     by_value
      - .offset:         112
        .size:           8
        .value_kind:     by_value
      - .offset:         120
        .size:           4
        .value_kind:     by_value
      - .offset:         128
        .size:           4
        .value_kind:     hidden_block_count_x
      - .offset:         132
        .size:           4
        .value_kind:     hidden_block_count_y
      - .offset:         136
        .size:           4
        .value_kind:     hidden_block_count_z
      - .offset:         140
        .size:           2
        .value_kind:     hidden_group_size_x
      - .offset:         142
        .size:           2
        .value_kind:     hidden_group_size_y
      - .offset:         144
        .size:           2
        .value_kind:     hidden_group_size_z
      - .offset:         146
        .size:           2
        .value_kind:     hidden_remainder_x
      - .offset:         148
        .size:           2
        .value_kind:     hidden_remainder_y
      - .offset:         150
        .size:           2
        .value_kind:     hidden_remainder_z
      - .offset:         168
        .size:           8
        .value_kind:     hidden_global_offset_x
      - .offset:         176
        .size:           8
        .value_kind:     hidden_global_offset_y
      - .offset:         184
        .size:           8
        .value_kind:     hidden_global_offset_z
      - .offset:         192
        .size:           2
        .value_kind:     hidden_grid_dims
    .group_segment_fixed_size: 16384
    .kernarg_segment_align: 8
    .kernarg_segment_size: 384
    .language:       OpenCL C
    .language_version:
      - 2
      - 0
    .max_flat_workgroup_size: 1024
    .name:           _ZL24rocblas_symm_hemm_kernelILb0ELb1ELi32EPKdPKS1_PKPdEvbiiT2_T3_lllS8_lllT4_llli
    .private_segment_fixed_size: 0
    .sgpr_count:     32
    .sgpr_spill_count: 0
    .symbol:         _ZL24rocblas_symm_hemm_kernelILb0ELb1ELi32EPKdPKS1_PKPdEvbiiT2_T3_lllS8_lllT4_llli.kd
    .uniform_work_group_size: 1
    .uses_dynamic_stack: false
    .vgpr_count:     33
    .vgpr_spill_count: 0
    .wavefront_size: 32
    .workgroup_processor_mode: 1
  - .args:
      - .offset:         0
        .size:           4
        .value_kind:     by_value
      - .offset:         4
        .size:           4
        .value_kind:     by_value
      - .offset:         8
        .size:           8
        .value_kind:     by_value
      - .address_space:  global
        .offset:         16
        .size:           8
        .value_kind:     global_buffer
      - .offset:         24
        .size:           8
        .value_kind:     by_value
      - .offset:         32
        .size:           8
        .value_kind:     by_value
      - .offset:         40
        .size:           8
        .value_kind:     by_value
      - .offset:         48
        .size:           4
        .value_kind:     by_value
      - .offset:         56
        .size:           4
        .value_kind:     hidden_block_count_x
      - .offset:         60
        .size:           4
        .value_kind:     hidden_block_count_y
      - .offset:         64
        .size:           4
        .value_kind:     hidden_block_count_z
      - .offset:         68
        .size:           2
        .value_kind:     hidden_group_size_x
      - .offset:         70
        .size:           2
        .value_kind:     hidden_group_size_y
      - .offset:         72
        .size:           2
        .value_kind:     hidden_group_size_z
      - .offset:         74
        .size:           2
        .value_kind:     hidden_remainder_x
      - .offset:         76
        .size:           2
        .value_kind:     hidden_remainder_y
      - .offset:         78
        .size:           2
        .value_kind:     hidden_remainder_z
      - .offset:         96
        .size:           8
        .value_kind:     hidden_global_offset_x
      - .offset:         104
        .size:           8
        .value_kind:     hidden_global_offset_y
      - .offset:         112
        .size:           8
        .value_kind:     hidden_global_offset_z
      - .offset:         120
        .size:           2
        .value_kind:     hidden_grid_dims
    .group_segment_fixed_size: 0
    .kernarg_segment_align: 8
    .kernarg_segment_size: 312
    .language:       OpenCL C
    .language_version:
      - 2
      - 0
    .max_flat_workgroup_size: 1024
    .name:           _ZL25rocblas_symm_scale_kernelILi128ELi8EdPKPdEviiT1_T2_llli
    .private_segment_fixed_size: 0
    .sgpr_count:     22
    .sgpr_spill_count: 0
    .symbol:         _ZL25rocblas_symm_scale_kernelILi128ELi8EdPKPdEviiT1_T2_llli.kd
    .uniform_work_group_size: 1
    .uses_dynamic_stack: false
    .vgpr_count:     8
    .vgpr_spill_count: 0
    .wavefront_size: 32
    .workgroup_processor_mode: 1
  - .args:
      - .offset:         0
        .size:           1
        .value_kind:     by_value
      - .offset:         4
        .size:           4
        .value_kind:     by_value
      - .offset:         8
        .size:           4
        .value_kind:     by_value
      - .offset:         16
        .size:           8
        .value_kind:     by_value
      - .address_space:  global
        .offset:         24
        .size:           8
        .value_kind:     global_buffer
      - .offset:         32
        .size:           8
        .value_kind:     by_value
      - .offset:         40
        .size:           8
        .value_kind:     by_value
      - .offset:         48
        .size:           8
        .value_kind:     by_value
      - .address_space:  global
        .offset:         56
        .size:           8
        .value_kind:     global_buffer
      - .offset:         64
        .size:           8
        .value_kind:     by_value
      - .offset:         72
        .size:           8
        .value_kind:     by_value
      - .offset:         80
        .size:           8
        .value_kind:     by_value
      - .address_space:  global
        .offset:         88
        .size:           8
        .value_kind:     global_buffer
      - .offset:         96
        .size:           8
        .value_kind:     by_value
      - .offset:         104
        .size:           8
        .value_kind:     by_value
      - .offset:         112
        .size:           8
        .value_kind:     by_value
      - .offset:         120
        .size:           4
        .value_kind:     by_value
      - .offset:         128
        .size:           4
        .value_kind:     hidden_block_count_x
      - .offset:         132
        .size:           4
        .value_kind:     hidden_block_count_y
      - .offset:         136
        .size:           4
        .value_kind:     hidden_block_count_z
      - .offset:         140
        .size:           2
        .value_kind:     hidden_group_size_x
      - .offset:         142
        .size:           2
        .value_kind:     hidden_group_size_y
      - .offset:         144
        .size:           2
        .value_kind:     hidden_group_size_z
      - .offset:         146
        .size:           2
        .value_kind:     hidden_remainder_x
      - .offset:         148
        .size:           2
        .value_kind:     hidden_remainder_y
      - .offset:         150
        .size:           2
        .value_kind:     hidden_remainder_z
      - .offset:         168
        .size:           8
        .value_kind:     hidden_global_offset_x
      - .offset:         176
        .size:           8
        .value_kind:     hidden_global_offset_y
      - .offset:         184
        .size:           8
        .value_kind:     hidden_global_offset_z
      - .offset:         192
        .size:           2
        .value_kind:     hidden_grid_dims
    .group_segment_fixed_size: 16384
    .kernarg_segment_align: 8
    .kernarg_segment_size: 384
    .language:       OpenCL C
    .language_version:
      - 2
      - 0
    .max_flat_workgroup_size: 1024
    .name:           _ZL24rocblas_symm_hemm_kernelILb0ELb0ELi32EdPKPKdPKPdEvbiiT2_T3_lllS8_lllT4_llli
    .private_segment_fixed_size: 0
    .sgpr_count:     32
    .sgpr_spill_count: 0
    .symbol:         _ZL24rocblas_symm_hemm_kernelILb0ELb0ELi32EdPKPKdPKPdEvbiiT2_T3_lllS8_lllT4_llli.kd
    .uniform_work_group_size: 1
    .uses_dynamic_stack: false
    .vgpr_count:     33
    .vgpr_spill_count: 0
    .wavefront_size: 32
    .workgroup_processor_mode: 1
  - .args:
      - .offset:         0
        .size:           1
        .value_kind:     by_value
      - .offset:         4
        .size:           4
        .value_kind:     by_value
      - .offset:         8
        .size:           4
        .value_kind:     by_value
      - .offset:         16
        .size:           8
        .value_kind:     by_value
      - .address_space:  global
        .offset:         24
        .size:           8
        .value_kind:     global_buffer
      - .offset:         32
        .size:           8
        .value_kind:     by_value
      - .offset:         40
        .size:           8
        .value_kind:     by_value
      - .offset:         48
        .size:           8
        .value_kind:     by_value
      - .address_space:  global
        .offset:         56
        .size:           8
        .value_kind:     global_buffer
      - .offset:         64
        .size:           8
        .value_kind:     by_value
      - .offset:         72
        .size:           8
        .value_kind:     by_value
      - .offset:         80
        .size:           8
        .value_kind:     by_value
      - .address_space:  global
        .offset:         88
        .size:           8
        .value_kind:     global_buffer
      - .offset:         96
        .size:           8
        .value_kind:     by_value
      - .offset:         104
        .size:           8
        .value_kind:     by_value
      - .offset:         112
        .size:           8
        .value_kind:     by_value
      - .offset:         120
        .size:           4
        .value_kind:     by_value
      - .offset:         128
        .size:           4
        .value_kind:     hidden_block_count_x
      - .offset:         132
        .size:           4
        .value_kind:     hidden_block_count_y
      - .offset:         136
        .size:           4
        .value_kind:     hidden_block_count_z
      - .offset:         140
        .size:           2
        .value_kind:     hidden_group_size_x
      - .offset:         142
        .size:           2
        .value_kind:     hidden_group_size_y
      - .offset:         144
        .size:           2
        .value_kind:     hidden_group_size_z
      - .offset:         146
        .size:           2
        .value_kind:     hidden_remainder_x
      - .offset:         148
        .size:           2
        .value_kind:     hidden_remainder_y
      - .offset:         150
        .size:           2
        .value_kind:     hidden_remainder_z
      - .offset:         168
        .size:           8
        .value_kind:     hidden_global_offset_x
      - .offset:         176
        .size:           8
        .value_kind:     hidden_global_offset_y
      - .offset:         184
        .size:           8
        .value_kind:     hidden_global_offset_z
      - .offset:         192
        .size:           2
        .value_kind:     hidden_grid_dims
    .group_segment_fixed_size: 16384
    .kernarg_segment_align: 8
    .kernarg_segment_size: 384
    .language:       OpenCL C
    .language_version:
      - 2
      - 0
    .max_flat_workgroup_size: 1024
    .name:           _ZL24rocblas_symm_hemm_kernelILb0ELb1ELi32EdPKPKdPKPdEvbiiT2_T3_lllS8_lllT4_llli
    .private_segment_fixed_size: 0
    .sgpr_count:     32
    .sgpr_spill_count: 0
    .symbol:         _ZL24rocblas_symm_hemm_kernelILb0ELb1ELi32EdPKPKdPKPdEvbiiT2_T3_lllS8_lllT4_llli.kd
    .uniform_work_group_size: 1
    .uses_dynamic_stack: false
    .vgpr_count:     33
    .vgpr_spill_count: 0
    .wavefront_size: 32
    .workgroup_processor_mode: 1
  - .args:
      - .offset:         0
        .size:           4
        .value_kind:     by_value
      - .offset:         4
        .size:           4
        .value_kind:     by_value
      - .address_space:  global
        .offset:         8
        .size:           8
        .value_kind:     global_buffer
      - .address_space:  global
        .offset:         16
        .size:           8
        .value_kind:     global_buffer
      - .offset:         24
        .size:           8
        .value_kind:     by_value
      - .offset:         32
        .size:           8
        .value_kind:     by_value
      - .offset:         40
        .size:           8
        .value_kind:     by_value
      - .offset:         48
        .size:           4
        .value_kind:     by_value
      - .offset:         56
        .size:           4
        .value_kind:     hidden_block_count_x
      - .offset:         60
        .size:           4
        .value_kind:     hidden_block_count_y
      - .offset:         64
        .size:           4
        .value_kind:     hidden_block_count_z
      - .offset:         68
        .size:           2
        .value_kind:     hidden_group_size_x
      - .offset:         70
        .size:           2
        .value_kind:     hidden_group_size_y
      - .offset:         72
        .size:           2
        .value_kind:     hidden_group_size_z
      - .offset:         74
        .size:           2
        .value_kind:     hidden_remainder_x
      - .offset:         76
        .size:           2
        .value_kind:     hidden_remainder_y
      - .offset:         78
        .size:           2
        .value_kind:     hidden_remainder_z
      - .offset:         96
        .size:           8
        .value_kind:     hidden_global_offset_x
      - .offset:         104
        .size:           8
        .value_kind:     hidden_global_offset_y
      - .offset:         112
        .size:           8
        .value_kind:     hidden_global_offset_z
      - .offset:         120
        .size:           2
        .value_kind:     hidden_grid_dims
    .group_segment_fixed_size: 0
    .kernarg_segment_align: 8
    .kernarg_segment_size: 312
    .language:       OpenCL C
    .language_version:
      - 2
      - 0
    .max_flat_workgroup_size: 1024
    .name:           _ZL25rocblas_symm_scale_kernelILi128ELi8EPK19rocblas_complex_numIfEPKPS1_EviiT1_T2_llli
    .private_segment_fixed_size: 0
    .sgpr_count:     22
    .sgpr_spill_count: 0
    .symbol:         _ZL25rocblas_symm_scale_kernelILi128ELi8EPK19rocblas_complex_numIfEPKPS1_EviiT1_T2_llli.kd
    .uniform_work_group_size: 1
    .uses_dynamic_stack: false
    .vgpr_count:     9
    .vgpr_spill_count: 0
    .wavefront_size: 32
    .workgroup_processor_mode: 1
  - .args:
      - .offset:         0
        .size:           1
        .value_kind:     by_value
      - .offset:         4
        .size:           4
        .value_kind:     by_value
      - .offset:         8
        .size:           4
        .value_kind:     by_value
      - .address_space:  global
        .offset:         16
        .size:           8
        .value_kind:     global_buffer
      - .address_space:  global
        .offset:         24
        .size:           8
        .value_kind:     global_buffer
      - .offset:         32
        .size:           8
        .value_kind:     by_value
      - .offset:         40
        .size:           8
        .value_kind:     by_value
      - .offset:         48
        .size:           8
        .value_kind:     by_value
      - .address_space:  global
        .offset:         56
        .size:           8
        .value_kind:     global_buffer
      - .offset:         64
        .size:           8
        .value_kind:     by_value
      - .offset:         72
        .size:           8
        .value_kind:     by_value
      - .offset:         80
        .size:           8
        .value_kind:     by_value
      - .address_space:  global
        .offset:         88
        .size:           8
        .value_kind:     global_buffer
      - .offset:         96
        .size:           8
        .value_kind:     by_value
      - .offset:         104
        .size:           8
        .value_kind:     by_value
      - .offset:         112
        .size:           8
        .value_kind:     by_value
      - .offset:         120
        .size:           4
        .value_kind:     by_value
      - .offset:         128
        .size:           4
        .value_kind:     hidden_block_count_x
      - .offset:         132
        .size:           4
        .value_kind:     hidden_block_count_y
      - .offset:         136
        .size:           4
        .value_kind:     hidden_block_count_z
      - .offset:         140
        .size:           2
        .value_kind:     hidden_group_size_x
      - .offset:         142
        .size:           2
        .value_kind:     hidden_group_size_y
      - .offset:         144
        .size:           2
        .value_kind:     hidden_group_size_z
      - .offset:         146
        .size:           2
        .value_kind:     hidden_remainder_x
      - .offset:         148
        .size:           2
        .value_kind:     hidden_remainder_y
      - .offset:         150
        .size:           2
        .value_kind:     hidden_remainder_z
      - .offset:         168
        .size:           8
        .value_kind:     hidden_global_offset_x
      - .offset:         176
        .size:           8
        .value_kind:     hidden_global_offset_y
      - .offset:         184
        .size:           8
        .value_kind:     hidden_global_offset_z
      - .offset:         192
        .size:           2
        .value_kind:     hidden_grid_dims
    .group_segment_fixed_size: 16384
    .kernarg_segment_align: 8
    .kernarg_segment_size: 384
    .language:       OpenCL C
    .language_version:
      - 2
      - 0
    .max_flat_workgroup_size: 1024
    .name:           _ZL24rocblas_symm_hemm_kernelILb0ELb0ELi32EPK19rocblas_complex_numIfEPKS3_PKPS1_EvbiiT2_T3_lllSA_lllT4_llli
    .private_segment_fixed_size: 0
    .sgpr_count:     32
    .sgpr_spill_count: 0
    .symbol:         _ZL24rocblas_symm_hemm_kernelILb0ELb0ELi32EPK19rocblas_complex_numIfEPKS3_PKPS1_EvbiiT2_T3_lllSA_lllT4_llli.kd
    .uniform_work_group_size: 1
    .uses_dynamic_stack: false
    .vgpr_count:     75
    .vgpr_spill_count: 0
    .wavefront_size: 32
    .workgroup_processor_mode: 1
  - .args:
      - .offset:         0
        .size:           1
        .value_kind:     by_value
      - .offset:         4
        .size:           4
        .value_kind:     by_value
      - .offset:         8
        .size:           4
        .value_kind:     by_value
      - .address_space:  global
        .offset:         16
        .size:           8
        .value_kind:     global_buffer
      - .address_space:  global
        .offset:         24
        .size:           8
        .value_kind:     global_buffer
      - .offset:         32
        .size:           8
        .value_kind:     by_value
      - .offset:         40
        .size:           8
        .value_kind:     by_value
      - .offset:         48
        .size:           8
        .value_kind:     by_value
      - .address_space:  global
        .offset:         56
        .size:           8
        .value_kind:     global_buffer
      - .offset:         64
        .size:           8
        .value_kind:     by_value
      - .offset:         72
        .size:           8
        .value_kind:     by_value
      - .offset:         80
        .size:           8
        .value_kind:     by_value
      - .address_space:  global
        .offset:         88
        .size:           8
        .value_kind:     global_buffer
      - .offset:         96
        .size:           8
        .value_kind:     by_value
      - .offset:         104
        .size:           8
        .value_kind:     by_value
      - .offset:         112
        .size:           8
        .value_kind:     by_value
      - .offset:         120
        .size:           4
        .value_kind:     by_value
      - .offset:         128
        .size:           4
        .value_kind:     hidden_block_count_x
      - .offset:         132
        .size:           4
        .value_kind:     hidden_block_count_y
      - .offset:         136
        .size:           4
        .value_kind:     hidden_block_count_z
      - .offset:         140
        .size:           2
        .value_kind:     hidden_group_size_x
      - .offset:         142
        .size:           2
        .value_kind:     hidden_group_size_y
      - .offset:         144
        .size:           2
        .value_kind:     hidden_group_size_z
      - .offset:         146
        .size:           2
        .value_kind:     hidden_remainder_x
      - .offset:         148
        .size:           2
        .value_kind:     hidden_remainder_y
      - .offset:         150
        .size:           2
        .value_kind:     hidden_remainder_z
      - .offset:         168
        .size:           8
        .value_kind:     hidden_global_offset_x
      - .offset:         176
        .size:           8
        .value_kind:     hidden_global_offset_y
      - .offset:         184
        .size:           8
        .value_kind:     hidden_global_offset_z
      - .offset:         192
        .size:           2
        .value_kind:     hidden_grid_dims
    .group_segment_fixed_size: 16384
    .kernarg_segment_align: 8
    .kernarg_segment_size: 384
    .language:       OpenCL C
    .language_version:
      - 2
      - 0
    .max_flat_workgroup_size: 1024
    .name:           _ZL24rocblas_symm_hemm_kernelILb0ELb1ELi32EPK19rocblas_complex_numIfEPKS3_PKPS1_EvbiiT2_T3_lllSA_lllT4_llli
    .private_segment_fixed_size: 0
    .sgpr_count:     32
    .sgpr_spill_count: 0
    .symbol:         _ZL24rocblas_symm_hemm_kernelILb0ELb1ELi32EPK19rocblas_complex_numIfEPKS3_PKPS1_EvbiiT2_T3_lllSA_lllT4_llli.kd
    .uniform_work_group_size: 1
    .uses_dynamic_stack: false
    .vgpr_count:     75
    .vgpr_spill_count: 0
    .wavefront_size: 32
    .workgroup_processor_mode: 1
  - .args:
      - .offset:         0
        .size:           4
        .value_kind:     by_value
      - .offset:         4
        .size:           4
        .value_kind:     by_value
      - .offset:         8
        .size:           8
        .value_kind:     by_value
      - .address_space:  global
        .offset:         16
        .size:           8
        .value_kind:     global_buffer
      - .offset:         24
        .size:           8
        .value_kind:     by_value
      - .offset:         32
        .size:           8
        .value_kind:     by_value
      - .offset:         40
        .size:           8
        .value_kind:     by_value
      - .offset:         48
        .size:           4
        .value_kind:     by_value
      - .offset:         56
        .size:           4
        .value_kind:     hidden_block_count_x
      - .offset:         60
        .size:           4
        .value_kind:     hidden_block_count_y
      - .offset:         64
        .size:           4
        .value_kind:     hidden_block_count_z
      - .offset:         68
        .size:           2
        .value_kind:     hidden_group_size_x
      - .offset:         70
        .size:           2
        .value_kind:     hidden_group_size_y
      - .offset:         72
        .size:           2
        .value_kind:     hidden_group_size_z
      - .offset:         74
        .size:           2
        .value_kind:     hidden_remainder_x
      - .offset:         76
        .size:           2
        .value_kind:     hidden_remainder_y
      - .offset:         78
        .size:           2
        .value_kind:     hidden_remainder_z
      - .offset:         96
        .size:           8
        .value_kind:     hidden_global_offset_x
      - .offset:         104
        .size:           8
        .value_kind:     hidden_global_offset_y
      - .offset:         112
        .size:           8
        .value_kind:     hidden_global_offset_z
      - .offset:         120
        .size:           2
        .value_kind:     hidden_grid_dims
    .group_segment_fixed_size: 0
    .kernarg_segment_align: 8
    .kernarg_segment_size: 312
    .language:       OpenCL C
    .language_version:
      - 2
      - 0
    .max_flat_workgroup_size: 1024
    .name:           _ZL25rocblas_symm_scale_kernelILi128ELi8E19rocblas_complex_numIfEPKPS1_EviiT1_T2_llli
    .private_segment_fixed_size: 0
    .sgpr_count:     19
    .sgpr_spill_count: 0
    .symbol:         _ZL25rocblas_symm_scale_kernelILi128ELi8E19rocblas_complex_numIfEPKPS1_EviiT1_T2_llli.kd
    .uniform_work_group_size: 1
    .uses_dynamic_stack: false
    .vgpr_count:     9
    .vgpr_spill_count: 0
    .wavefront_size: 32
    .workgroup_processor_mode: 1
  - .args:
      - .offset:         0
        .size:           1
        .value_kind:     by_value
      - .offset:         4
        .size:           4
        .value_kind:     by_value
      - .offset:         8
        .size:           4
        .value_kind:     by_value
      - .offset:         12
        .size:           8
        .value_kind:     by_value
      - .address_space:  global
        .offset:         24
        .size:           8
        .value_kind:     global_buffer
      - .offset:         32
        .size:           8
        .value_kind:     by_value
      - .offset:         40
        .size:           8
        .value_kind:     by_value
      - .offset:         48
        .size:           8
        .value_kind:     by_value
      - .address_space:  global
        .offset:         56
        .size:           8
        .value_kind:     global_buffer
      - .offset:         64
        .size:           8
        .value_kind:     by_value
      - .offset:         72
        .size:           8
        .value_kind:     by_value
      - .offset:         80
        .size:           8
        .value_kind:     by_value
      - .address_space:  global
        .offset:         88
        .size:           8
        .value_kind:     global_buffer
      - .offset:         96
        .size:           8
        .value_kind:     by_value
      - .offset:         104
        .size:           8
        .value_kind:     by_value
      - .offset:         112
        .size:           8
        .value_kind:     by_value
      - .offset:         120
        .size:           4
        .value_kind:     by_value
      - .offset:         128
        .size:           4
        .value_kind:     hidden_block_count_x
      - .offset:         132
        .size:           4
        .value_kind:     hidden_block_count_y
      - .offset:         136
        .size:           4
        .value_kind:     hidden_block_count_z
      - .offset:         140
        .size:           2
        .value_kind:     hidden_group_size_x
      - .offset:         142
        .size:           2
        .value_kind:     hidden_group_size_y
      - .offset:         144
        .size:           2
        .value_kind:     hidden_group_size_z
      - .offset:         146
        .size:           2
        .value_kind:     hidden_remainder_x
      - .offset:         148
        .size:           2
        .value_kind:     hidden_remainder_y
      - .offset:         150
        .size:           2
        .value_kind:     hidden_remainder_z
      - .offset:         168
        .size:           8
        .value_kind:     hidden_global_offset_x
      - .offset:         176
        .size:           8
        .value_kind:     hidden_global_offset_y
      - .offset:         184
        .size:           8
        .value_kind:     hidden_global_offset_z
      - .offset:         192
        .size:           2
        .value_kind:     hidden_grid_dims
    .group_segment_fixed_size: 16384
    .kernarg_segment_align: 8
    .kernarg_segment_size: 384
    .language:       OpenCL C
    .language_version:
      - 2
      - 0
    .max_flat_workgroup_size: 1024
    .name:           _ZL24rocblas_symm_hemm_kernelILb0ELb0ELi32E19rocblas_complex_numIfEPKPKS1_PKPS1_EvbiiT2_T3_lllSA_lllT4_llli
    .private_segment_fixed_size: 0
    .sgpr_count:     30
    .sgpr_spill_count: 0
    .symbol:         _ZL24rocblas_symm_hemm_kernelILb0ELb0ELi32E19rocblas_complex_numIfEPKPKS1_PKPS1_EvbiiT2_T3_lllSA_lllT4_llli.kd
    .uniform_work_group_size: 1
    .uses_dynamic_stack: false
    .vgpr_count:     75
    .vgpr_spill_count: 0
    .wavefront_size: 32
    .workgroup_processor_mode: 1
  - .args:
      - .offset:         0
        .size:           1
        .value_kind:     by_value
      - .offset:         4
        .size:           4
        .value_kind:     by_value
      - .offset:         8
        .size:           4
        .value_kind:     by_value
      - .offset:         12
        .size:           8
        .value_kind:     by_value
      - .address_space:  global
        .offset:         24
        .size:           8
        .value_kind:     global_buffer
      - .offset:         32
        .size:           8
        .value_kind:     by_value
      - .offset:         40
        .size:           8
        .value_kind:     by_value
      - .offset:         48
        .size:           8
        .value_kind:     by_value
      - .address_space:  global
        .offset:         56
        .size:           8
        .value_kind:     global_buffer
      - .offset:         64
        .size:           8
        .value_kind:     by_value
      - .offset:         72
        .size:           8
        .value_kind:     by_value
      - .offset:         80
        .size:           8
        .value_kind:     by_value
      - .address_space:  global
        .offset:         88
        .size:           8
        .value_kind:     global_buffer
      - .offset:         96
        .size:           8
        .value_kind:     by_value
      - .offset:         104
        .size:           8
        .value_kind:     by_value
      - .offset:         112
        .size:           8
        .value_kind:     by_value
      - .offset:         120
        .size:           4
        .value_kind:     by_value
      - .offset:         128
        .size:           4
        .value_kind:     hidden_block_count_x
      - .offset:         132
        .size:           4
        .value_kind:     hidden_block_count_y
      - .offset:         136
        .size:           4
        .value_kind:     hidden_block_count_z
      - .offset:         140
        .size:           2
        .value_kind:     hidden_group_size_x
      - .offset:         142
        .size:           2
        .value_kind:     hidden_group_size_y
      - .offset:         144
        .size:           2
        .value_kind:     hidden_group_size_z
      - .offset:         146
        .size:           2
        .value_kind:     hidden_remainder_x
      - .offset:         148
        .size:           2
        .value_kind:     hidden_remainder_y
      - .offset:         150
        .size:           2
        .value_kind:     hidden_remainder_z
      - .offset:         168
        .size:           8
        .value_kind:     hidden_global_offset_x
      - .offset:         176
        .size:           8
        .value_kind:     hidden_global_offset_y
      - .offset:         184
        .size:           8
        .value_kind:     hidden_global_offset_z
      - .offset:         192
        .size:           2
        .value_kind:     hidden_grid_dims
    .group_segment_fixed_size: 16384
    .kernarg_segment_align: 8
    .kernarg_segment_size: 384
    .language:       OpenCL C
    .language_version:
      - 2
      - 0
    .max_flat_workgroup_size: 1024
    .name:           _ZL24rocblas_symm_hemm_kernelILb0ELb1ELi32E19rocblas_complex_numIfEPKPKS1_PKPS1_EvbiiT2_T3_lllSA_lllT4_llli
    .private_segment_fixed_size: 0
    .sgpr_count:     32
    .sgpr_spill_count: 0
    .symbol:         _ZL24rocblas_symm_hemm_kernelILb0ELb1ELi32E19rocblas_complex_numIfEPKPKS1_PKPS1_EvbiiT2_T3_lllSA_lllT4_llli.kd
    .uniform_work_group_size: 1
    .uses_dynamic_stack: false
    .vgpr_count:     75
    .vgpr_spill_count: 0
    .wavefront_size: 32
    .workgroup_processor_mode: 1
  - .args:
      - .offset:         0
        .size:           4
        .value_kind:     by_value
      - .offset:         4
        .size:           4
        .value_kind:     by_value
      - .address_space:  global
        .offset:         8
        .size:           8
        .value_kind:     global_buffer
      - .address_space:  global
        .offset:         16
        .size:           8
        .value_kind:     global_buffer
      - .offset:         24
        .size:           8
        .value_kind:     by_value
      - .offset:         32
        .size:           8
        .value_kind:     by_value
      - .offset:         40
        .size:           8
        .value_kind:     by_value
      - .offset:         48
        .size:           4
        .value_kind:     by_value
      - .offset:         56
        .size:           4
        .value_kind:     hidden_block_count_x
      - .offset:         60
        .size:           4
        .value_kind:     hidden_block_count_y
      - .offset:         64
        .size:           4
        .value_kind:     hidden_block_count_z
      - .offset:         68
        .size:           2
        .value_kind:     hidden_group_size_x
      - .offset:         70
        .size:           2
        .value_kind:     hidden_group_size_y
      - .offset:         72
        .size:           2
        .value_kind:     hidden_group_size_z
      - .offset:         74
        .size:           2
        .value_kind:     hidden_remainder_x
      - .offset:         76
        .size:           2
        .value_kind:     hidden_remainder_y
      - .offset:         78
        .size:           2
        .value_kind:     hidden_remainder_z
      - .offset:         96
        .size:           8
        .value_kind:     hidden_global_offset_x
      - .offset:         104
        .size:           8
        .value_kind:     hidden_global_offset_y
      - .offset:         112
        .size:           8
        .value_kind:     hidden_global_offset_z
      - .offset:         120
        .size:           2
        .value_kind:     hidden_grid_dims
    .group_segment_fixed_size: 0
    .kernarg_segment_align: 8
    .kernarg_segment_size: 312
    .language:       OpenCL C
    .language_version:
      - 2
      - 0
    .max_flat_workgroup_size: 1024
    .name:           _ZL25rocblas_symm_scale_kernelILi128ELi8EPK19rocblas_complex_numIdEPKPS1_EviiT1_T2_llli
    .private_segment_fixed_size: 0
    .sgpr_count:     26
    .sgpr_spill_count: 0
    .symbol:         _ZL25rocblas_symm_scale_kernelILi128ELi8EPK19rocblas_complex_numIdEPKPS1_EviiT1_T2_llli.kd
    .uniform_work_group_size: 1
    .uses_dynamic_stack: false
    .vgpr_count:     12
    .vgpr_spill_count: 0
    .wavefront_size: 32
    .workgroup_processor_mode: 1
  - .args:
      - .offset:         0
        .size:           1
        .value_kind:     by_value
      - .offset:         4
        .size:           4
        .value_kind:     by_value
      - .offset:         8
        .size:           4
        .value_kind:     by_value
      - .address_space:  global
        .offset:         16
        .size:           8
        .value_kind:     global_buffer
      - .address_space:  global
        .offset:         24
        .size:           8
        .value_kind:     global_buffer
      - .offset:         32
        .size:           8
        .value_kind:     by_value
      - .offset:         40
        .size:           8
        .value_kind:     by_value
      - .offset:         48
        .size:           8
        .value_kind:     by_value
      - .address_space:  global
        .offset:         56
        .size:           8
        .value_kind:     global_buffer
      - .offset:         64
        .size:           8
        .value_kind:     by_value
      - .offset:         72
        .size:           8
        .value_kind:     by_value
      - .offset:         80
        .size:           8
        .value_kind:     by_value
      - .address_space:  global
        .offset:         88
        .size:           8
        .value_kind:     global_buffer
      - .offset:         96
        .size:           8
        .value_kind:     by_value
      - .offset:         104
        .size:           8
        .value_kind:     by_value
      - .offset:         112
        .size:           8
        .value_kind:     by_value
      - .offset:         120
        .size:           4
        .value_kind:     by_value
      - .offset:         128
        .size:           4
        .value_kind:     hidden_block_count_x
      - .offset:         132
        .size:           4
        .value_kind:     hidden_block_count_y
      - .offset:         136
        .size:           4
        .value_kind:     hidden_block_count_z
      - .offset:         140
        .size:           2
        .value_kind:     hidden_group_size_x
      - .offset:         142
        .size:           2
        .value_kind:     hidden_group_size_y
      - .offset:         144
        .size:           2
        .value_kind:     hidden_group_size_z
      - .offset:         146
        .size:           2
        .value_kind:     hidden_remainder_x
      - .offset:         148
        .size:           2
        .value_kind:     hidden_remainder_y
      - .offset:         150
        .size:           2
        .value_kind:     hidden_remainder_z
      - .offset:         168
        .size:           8
        .value_kind:     hidden_global_offset_x
      - .offset:         176
        .size:           8
        .value_kind:     hidden_global_offset_y
      - .offset:         184
        .size:           8
        .value_kind:     hidden_global_offset_z
      - .offset:         192
        .size:           2
        .value_kind:     hidden_grid_dims
    .group_segment_fixed_size: 32768
    .kernarg_segment_align: 8
    .kernarg_segment_size: 384
    .language:       OpenCL C
    .language_version:
      - 2
      - 0
    .max_flat_workgroup_size: 1024
    .name:           _ZL24rocblas_symm_hemm_kernelILb0ELb0ELi32EPK19rocblas_complex_numIdEPKS3_PKPS1_EvbiiT2_T3_lllSA_lllT4_llli
    .private_segment_fixed_size: 0
    .sgpr_count:     42
    .sgpr_spill_count: 0
    .symbol:         _ZL24rocblas_symm_hemm_kernelILb0ELb0ELi32EPK19rocblas_complex_numIdEPKS3_PKPS1_EvbiiT2_T3_lllSA_lllT4_llli.kd
    .uniform_work_group_size: 1
    .uses_dynamic_stack: false
    .vgpr_count:     55
    .vgpr_spill_count: 0
    .wavefront_size: 32
    .workgroup_processor_mode: 1
  - .args:
      - .offset:         0
        .size:           1
        .value_kind:     by_value
      - .offset:         4
        .size:           4
        .value_kind:     by_value
      - .offset:         8
        .size:           4
        .value_kind:     by_value
      - .address_space:  global
        .offset:         16
        .size:           8
        .value_kind:     global_buffer
      - .address_space:  global
        .offset:         24
        .size:           8
        .value_kind:     global_buffer
      - .offset:         32
        .size:           8
        .value_kind:     by_value
      - .offset:         40
        .size:           8
        .value_kind:     by_value
      - .offset:         48
        .size:           8
        .value_kind:     by_value
      - .address_space:  global
        .offset:         56
        .size:           8
        .value_kind:     global_buffer
      - .offset:         64
        .size:           8
        .value_kind:     by_value
      - .offset:         72
        .size:           8
        .value_kind:     by_value
      - .offset:         80
        .size:           8
        .value_kind:     by_value
      - .address_space:  global
        .offset:         88
        .size:           8
        .value_kind:     global_buffer
      - .offset:         96
        .size:           8
        .value_kind:     by_value
      - .offset:         104
        .size:           8
        .value_kind:     by_value
      - .offset:         112
        .size:           8
        .value_kind:     by_value
      - .offset:         120
        .size:           4
        .value_kind:     by_value
      - .offset:         128
        .size:           4
        .value_kind:     hidden_block_count_x
      - .offset:         132
        .size:           4
        .value_kind:     hidden_block_count_y
      - .offset:         136
        .size:           4
        .value_kind:     hidden_block_count_z
      - .offset:         140
        .size:           2
        .value_kind:     hidden_group_size_x
      - .offset:         142
        .size:           2
        .value_kind:     hidden_group_size_y
      - .offset:         144
        .size:           2
        .value_kind:     hidden_group_size_z
      - .offset:         146
        .size:           2
        .value_kind:     hidden_remainder_x
      - .offset:         148
        .size:           2
        .value_kind:     hidden_remainder_y
      - .offset:         150
        .size:           2
        .value_kind:     hidden_remainder_z
      - .offset:         168
        .size:           8
        .value_kind:     hidden_global_offset_x
      - .offset:         176
        .size:           8
        .value_kind:     hidden_global_offset_y
      - .offset:         184
        .size:           8
        .value_kind:     hidden_global_offset_z
      - .offset:         192
        .size:           2
        .value_kind:     hidden_grid_dims
    .group_segment_fixed_size: 32768
    .kernarg_segment_align: 8
    .kernarg_segment_size: 384
    .language:       OpenCL C
    .language_version:
      - 2
      - 0
    .max_flat_workgroup_size: 1024
    .name:           _ZL24rocblas_symm_hemm_kernelILb0ELb1ELi32EPK19rocblas_complex_numIdEPKS3_PKPS1_EvbiiT2_T3_lllSA_lllT4_llli
    .private_segment_fixed_size: 0
    .sgpr_count:     34
    .sgpr_spill_count: 0
    .symbol:         _ZL24rocblas_symm_hemm_kernelILb0ELb1ELi32EPK19rocblas_complex_numIdEPKS3_PKPS1_EvbiiT2_T3_lllSA_lllT4_llli.kd
    .uniform_work_group_size: 1
    .uses_dynamic_stack: false
    .vgpr_count:     55
    .vgpr_spill_count: 0
    .wavefront_size: 32
    .workgroup_processor_mode: 1
  - .args:
      - .offset:         0
        .size:           4
        .value_kind:     by_value
      - .offset:         4
        .size:           4
        .value_kind:     by_value
      - .offset:         8
        .size:           16
        .value_kind:     by_value
      - .address_space:  global
        .offset:         24
        .size:           8
        .value_kind:     global_buffer
      - .offset:         32
        .size:           8
        .value_kind:     by_value
      - .offset:         40
        .size:           8
        .value_kind:     by_value
      - .offset:         48
        .size:           8
        .value_kind:     by_value
      - .offset:         56
        .size:           4
        .value_kind:     by_value
      - .offset:         64
        .size:           4
        .value_kind:     hidden_block_count_x
      - .offset:         68
        .size:           4
        .value_kind:     hidden_block_count_y
      - .offset:         72
        .size:           4
        .value_kind:     hidden_block_count_z
      - .offset:         76
        .size:           2
        .value_kind:     hidden_group_size_x
      - .offset:         78
        .size:           2
        .value_kind:     hidden_group_size_y
      - .offset:         80
        .size:           2
        .value_kind:     hidden_group_size_z
      - .offset:         82
        .size:           2
        .value_kind:     hidden_remainder_x
      - .offset:         84
        .size:           2
        .value_kind:     hidden_remainder_y
      - .offset:         86
        .size:           2
        .value_kind:     hidden_remainder_z
      - .offset:         104
        .size:           8
        .value_kind:     hidden_global_offset_x
      - .offset:         112
        .size:           8
        .value_kind:     hidden_global_offset_y
      - .offset:         120
        .size:           8
        .value_kind:     hidden_global_offset_z
      - .offset:         128
        .size:           2
        .value_kind:     hidden_grid_dims
    .group_segment_fixed_size: 0
    .kernarg_segment_align: 8
    .kernarg_segment_size: 320
    .language:       OpenCL C
    .language_version:
      - 2
      - 0
    .max_flat_workgroup_size: 1024
    .name:           _ZL25rocblas_symm_scale_kernelILi128ELi8E19rocblas_complex_numIdEPKPS1_EviiT1_T2_llli
    .private_segment_fixed_size: 0
    .sgpr_count:     23
    .sgpr_spill_count: 0
    .symbol:         _ZL25rocblas_symm_scale_kernelILi128ELi8E19rocblas_complex_numIdEPKPS1_EviiT1_T2_llli.kd
    .uniform_work_group_size: 1
    .uses_dynamic_stack: false
    .vgpr_count:     12
    .vgpr_spill_count: 0
    .wavefront_size: 32
    .workgroup_processor_mode: 1
  - .args:
      - .offset:         0
        .size:           1
        .value_kind:     by_value
      - .offset:         4
        .size:           4
        .value_kind:     by_value
      - .offset:         8
        .size:           4
        .value_kind:     by_value
      - .offset:         16
        .size:           16
        .value_kind:     by_value
      - .address_space:  global
        .offset:         32
        .size:           8
        .value_kind:     global_buffer
      - .offset:         40
        .size:           8
        .value_kind:     by_value
      - .offset:         48
        .size:           8
        .value_kind:     by_value
      - .offset:         56
        .size:           8
        .value_kind:     by_value
      - .address_space:  global
        .offset:         64
        .size:           8
        .value_kind:     global_buffer
      - .offset:         72
        .size:           8
        .value_kind:     by_value
      - .offset:         80
        .size:           8
        .value_kind:     by_value
      - .offset:         88
        .size:           8
        .value_kind:     by_value
      - .address_space:  global
        .offset:         96
        .size:           8
        .value_kind:     global_buffer
      - .offset:         104
        .size:           8
        .value_kind:     by_value
      - .offset:         112
        .size:           8
        .value_kind:     by_value
      - .offset:         120
        .size:           8
        .value_kind:     by_value
      - .offset:         128
        .size:           4
        .value_kind:     by_value
      - .offset:         136
        .size:           4
        .value_kind:     hidden_block_count_x
      - .offset:         140
        .size:           4
        .value_kind:     hidden_block_count_y
      - .offset:         144
        .size:           4
        .value_kind:     hidden_block_count_z
      - .offset:         148
        .size:           2
        .value_kind:     hidden_group_size_x
      - .offset:         150
        .size:           2
        .value_kind:     hidden_group_size_y
      - .offset:         152
        .size:           2
        .value_kind:     hidden_group_size_z
      - .offset:         154
        .size:           2
        .value_kind:     hidden_remainder_x
      - .offset:         156
        .size:           2
        .value_kind:     hidden_remainder_y
      - .offset:         158
        .size:           2
        .value_kind:     hidden_remainder_z
      - .offset:         176
        .size:           8
        .value_kind:     hidden_global_offset_x
      - .offset:         184
        .size:           8
        .value_kind:     hidden_global_offset_y
      - .offset:         192
        .size:           8
        .value_kind:     hidden_global_offset_z
      - .offset:         200
        .size:           2
        .value_kind:     hidden_grid_dims
    .group_segment_fixed_size: 32768
    .kernarg_segment_align: 8
    .kernarg_segment_size: 392
    .language:       OpenCL C
    .language_version:
      - 2
      - 0
    .max_flat_workgroup_size: 1024
    .name:           _ZL24rocblas_symm_hemm_kernelILb0ELb0ELi32E19rocblas_complex_numIdEPKPKS1_PKPS1_EvbiiT2_T3_lllSA_lllT4_llli
    .private_segment_fixed_size: 0
    .sgpr_count:     34
    .sgpr_spill_count: 0
    .symbol:         _ZL24rocblas_symm_hemm_kernelILb0ELb0ELi32E19rocblas_complex_numIdEPKPKS1_PKPS1_EvbiiT2_T3_lllSA_lllT4_llli.kd
    .uniform_work_group_size: 1
    .uses_dynamic_stack: false
    .vgpr_count:     55
    .vgpr_spill_count: 0
    .wavefront_size: 32
    .workgroup_processor_mode: 1
  - .args:
      - .offset:         0
        .size:           1
        .value_kind:     by_value
      - .offset:         4
        .size:           4
        .value_kind:     by_value
      - .offset:         8
        .size:           4
        .value_kind:     by_value
      - .offset:         16
        .size:           16
        .value_kind:     by_value
      - .address_space:  global
        .offset:         32
        .size:           8
        .value_kind:     global_buffer
      - .offset:         40
        .size:           8
        .value_kind:     by_value
      - .offset:         48
        .size:           8
        .value_kind:     by_value
      - .offset:         56
        .size:           8
        .value_kind:     by_value
      - .address_space:  global
        .offset:         64
        .size:           8
        .value_kind:     global_buffer
      - .offset:         72
        .size:           8
        .value_kind:     by_value
      - .offset:         80
        .size:           8
        .value_kind:     by_value
      - .offset:         88
        .size:           8
        .value_kind:     by_value
      - .address_space:  global
        .offset:         96
        .size:           8
        .value_kind:     global_buffer
      - .offset:         104
        .size:           8
        .value_kind:     by_value
      - .offset:         112
        .size:           8
        .value_kind:     by_value
      - .offset:         120
        .size:           8
        .value_kind:     by_value
      - .offset:         128
        .size:           4
        .value_kind:     by_value
      - .offset:         136
        .size:           4
        .value_kind:     hidden_block_count_x
      - .offset:         140
        .size:           4
        .value_kind:     hidden_block_count_y
      - .offset:         144
        .size:           4
        .value_kind:     hidden_block_count_z
      - .offset:         148
        .size:           2
        .value_kind:     hidden_group_size_x
      - .offset:         150
        .size:           2
        .value_kind:     hidden_group_size_y
      - .offset:         152
        .size:           2
        .value_kind:     hidden_group_size_z
      - .offset:         154
        .size:           2
        .value_kind:     hidden_remainder_x
      - .offset:         156
        .size:           2
        .value_kind:     hidden_remainder_y
      - .offset:         158
        .size:           2
        .value_kind:     hidden_remainder_z
      - .offset:         176
        .size:           8
        .value_kind:     hidden_global_offset_x
      - .offset:         184
        .size:           8
        .value_kind:     hidden_global_offset_y
      - .offset:         192
        .size:           8
        .value_kind:     hidden_global_offset_z
      - .offset:         200
        .size:           2
        .value_kind:     hidden_grid_dims
    .group_segment_fixed_size: 32768
    .kernarg_segment_align: 8
    .kernarg_segment_size: 392
    .language:       OpenCL C
    .language_version:
      - 2
      - 0
    .max_flat_workgroup_size: 1024
    .name:           _ZL24rocblas_symm_hemm_kernelILb0ELb1ELi32E19rocblas_complex_numIdEPKPKS1_PKPS1_EvbiiT2_T3_lllSA_lllT4_llli
    .private_segment_fixed_size: 0
    .sgpr_count:     32
    .sgpr_spill_count: 0
    .symbol:         _ZL24rocblas_symm_hemm_kernelILb0ELb1ELi32E19rocblas_complex_numIdEPKPKS1_PKPS1_EvbiiT2_T3_lllSA_lllT4_llli.kd
    .uniform_work_group_size: 1
    .uses_dynamic_stack: false
    .vgpr_count:     55
    .vgpr_spill_count: 0
    .wavefront_size: 32
    .workgroup_processor_mode: 1
  - .args:
      - .offset:         0
        .size:           1
        .value_kind:     by_value
      - .offset:         4
        .size:           4
        .value_kind:     by_value
      - .offset:         8
        .size:           4
        .value_kind:     by_value
      - .address_space:  global
        .offset:         16
        .size:           8
        .value_kind:     global_buffer
      - .address_space:  global
        .offset:         24
        .size:           8
        .value_kind:     global_buffer
      - .offset:         32
        .size:           8
        .value_kind:     by_value
      - .offset:         40
        .size:           8
        .value_kind:     by_value
      - .offset:         48
        .size:           8
        .value_kind:     by_value
      - .address_space:  global
        .offset:         56
        .size:           8
        .value_kind:     global_buffer
      - .offset:         64
        .size:           8
        .value_kind:     by_value
      - .offset:         72
        .size:           8
        .value_kind:     by_value
      - .offset:         80
        .size:           8
        .value_kind:     by_value
      - .address_space:  global
        .offset:         88
        .size:           8
        .value_kind:     global_buffer
      - .offset:         96
        .size:           8
        .value_kind:     by_value
      - .offset:         104
        .size:           8
        .value_kind:     by_value
      - .offset:         112
        .size:           8
        .value_kind:     by_value
      - .offset:         120
        .size:           4
        .value_kind:     by_value
      - .offset:         128
        .size:           4
        .value_kind:     hidden_block_count_x
      - .offset:         132
        .size:           4
        .value_kind:     hidden_block_count_y
      - .offset:         136
        .size:           4
        .value_kind:     hidden_block_count_z
      - .offset:         140
        .size:           2
        .value_kind:     hidden_group_size_x
      - .offset:         142
        .size:           2
        .value_kind:     hidden_group_size_y
      - .offset:         144
        .size:           2
        .value_kind:     hidden_group_size_z
      - .offset:         146
        .size:           2
        .value_kind:     hidden_remainder_x
      - .offset:         148
        .size:           2
        .value_kind:     hidden_remainder_y
      - .offset:         150
        .size:           2
        .value_kind:     hidden_remainder_z
      - .offset:         168
        .size:           8
        .value_kind:     hidden_global_offset_x
      - .offset:         176
        .size:           8
        .value_kind:     hidden_global_offset_y
      - .offset:         184
        .size:           8
        .value_kind:     hidden_global_offset_z
      - .offset:         192
        .size:           2
        .value_kind:     hidden_grid_dims
    .group_segment_fixed_size: 16384
    .kernarg_segment_align: 8
    .kernarg_segment_size: 384
    .language:       OpenCL C
    .language_version:
      - 2
      - 0
    .max_flat_workgroup_size: 1024
    .name:           _ZL24rocblas_symm_hemm_kernelILb1ELb0ELi32EPK19rocblas_complex_numIfEPKS3_PKPS1_EvbiiT2_T3_lllSA_lllT4_llli
    .private_segment_fixed_size: 0
    .sgpr_count:     34
    .sgpr_spill_count: 0
    .symbol:         _ZL24rocblas_symm_hemm_kernelILb1ELb0ELi32EPK19rocblas_complex_numIfEPKS3_PKPS1_EvbiiT2_T3_lllSA_lllT4_llli.kd
    .uniform_work_group_size: 1
    .uses_dynamic_stack: false
    .vgpr_count:     97
    .vgpr_spill_count: 0
    .wavefront_size: 32
    .workgroup_processor_mode: 1
  - .args:
      - .offset:         0
        .size:           1
        .value_kind:     by_value
      - .offset:         4
        .size:           4
        .value_kind:     by_value
      - .offset:         8
        .size:           4
        .value_kind:     by_value
      - .address_space:  global
        .offset:         16
        .size:           8
        .value_kind:     global_buffer
      - .address_space:  global
        .offset:         24
        .size:           8
        .value_kind:     global_buffer
      - .offset:         32
        .size:           8
        .value_kind:     by_value
      - .offset:         40
        .size:           8
        .value_kind:     by_value
      - .offset:         48
        .size:           8
        .value_kind:     by_value
      - .address_space:  global
        .offset:         56
        .size:           8
        .value_kind:     global_buffer
      - .offset:         64
        .size:           8
        .value_kind:     by_value
      - .offset:         72
        .size:           8
        .value_kind:     by_value
      - .offset:         80
        .size:           8
        .value_kind:     by_value
      - .address_space:  global
        .offset:         88
        .size:           8
        .value_kind:     global_buffer
      - .offset:         96
        .size:           8
        .value_kind:     by_value
      - .offset:         104
        .size:           8
        .value_kind:     by_value
      - .offset:         112
        .size:           8
        .value_kind:     by_value
      - .offset:         120
        .size:           4
        .value_kind:     by_value
      - .offset:         128
        .size:           4
        .value_kind:     hidden_block_count_x
      - .offset:         132
        .size:           4
        .value_kind:     hidden_block_count_y
      - .offset:         136
        .size:           4
        .value_kind:     hidden_block_count_z
      - .offset:         140
        .size:           2
        .value_kind:     hidden_group_size_x
      - .offset:         142
        .size:           2
        .value_kind:     hidden_group_size_y
      - .offset:         144
        .size:           2
        .value_kind:     hidden_group_size_z
      - .offset:         146
        .size:           2
        .value_kind:     hidden_remainder_x
      - .offset:         148
        .size:           2
        .value_kind:     hidden_remainder_y
      - .offset:         150
        .size:           2
        .value_kind:     hidden_remainder_z
      - .offset:         168
        .size:           8
        .value_kind:     hidden_global_offset_x
      - .offset:         176
        .size:           8
        .value_kind:     hidden_global_offset_y
      - .offset:         184
        .size:           8
        .value_kind:     hidden_global_offset_z
      - .offset:         192
        .size:           2
        .value_kind:     hidden_grid_dims
    .group_segment_fixed_size: 16384
    .kernarg_segment_align: 8
    .kernarg_segment_size: 384
    .language:       OpenCL C
    .language_version:
      - 2
      - 0
    .max_flat_workgroup_size: 1024
    .name:           _ZL24rocblas_symm_hemm_kernelILb1ELb1ELi32EPK19rocblas_complex_numIfEPKS3_PKPS1_EvbiiT2_T3_lllSA_lllT4_llli
    .private_segment_fixed_size: 0
    .sgpr_count:     32
    .sgpr_spill_count: 0
    .symbol:         _ZL24rocblas_symm_hemm_kernelILb1ELb1ELi32EPK19rocblas_complex_numIfEPKS3_PKPS1_EvbiiT2_T3_lllSA_lllT4_llli.kd
    .uniform_work_group_size: 1
    .uses_dynamic_stack: false
    .vgpr_count:     101
    .vgpr_spill_count: 0
    .wavefront_size: 32
    .workgroup_processor_mode: 1
  - .args:
      - .offset:         0
        .size:           1
        .value_kind:     by_value
      - .offset:         4
        .size:           4
        .value_kind:     by_value
      - .offset:         8
        .size:           4
        .value_kind:     by_value
      - .offset:         12
        .size:           8
        .value_kind:     by_value
      - .address_space:  global
        .offset:         24
        .size:           8
        .value_kind:     global_buffer
      - .offset:         32
        .size:           8
        .value_kind:     by_value
      - .offset:         40
        .size:           8
        .value_kind:     by_value
      - .offset:         48
        .size:           8
        .value_kind:     by_value
      - .address_space:  global
        .offset:         56
        .size:           8
        .value_kind:     global_buffer
      - .offset:         64
        .size:           8
        .value_kind:     by_value
      - .offset:         72
        .size:           8
        .value_kind:     by_value
      - .offset:         80
        .size:           8
        .value_kind:     by_value
      - .address_space:  global
        .offset:         88
        .size:           8
        .value_kind:     global_buffer
      - .offset:         96
        .size:           8
        .value_kind:     by_value
      - .offset:         104
        .size:           8
        .value_kind:     by_value
      - .offset:         112
        .size:           8
        .value_kind:     by_value
      - .offset:         120
        .size:           4
        .value_kind:     by_value
      - .offset:         128
        .size:           4
        .value_kind:     hidden_block_count_x
      - .offset:         132
        .size:           4
        .value_kind:     hidden_block_count_y
      - .offset:         136
        .size:           4
        .value_kind:     hidden_block_count_z
      - .offset:         140
        .size:           2
        .value_kind:     hidden_group_size_x
      - .offset:         142
        .size:           2
        .value_kind:     hidden_group_size_y
      - .offset:         144
        .size:           2
        .value_kind:     hidden_group_size_z
      - .offset:         146
        .size:           2
        .value_kind:     hidden_remainder_x
      - .offset:         148
        .size:           2
        .value_kind:     hidden_remainder_y
      - .offset:         150
        .size:           2
        .value_kind:     hidden_remainder_z
      - .offset:         168
        .size:           8
        .value_kind:     hidden_global_offset_x
      - .offset:         176
        .size:           8
        .value_kind:     hidden_global_offset_y
      - .offset:         184
        .size:           8
        .value_kind:     hidden_global_offset_z
      - .offset:         192
        .size:           2
        .value_kind:     hidden_grid_dims
    .group_segment_fixed_size: 16384
    .kernarg_segment_align: 8
    .kernarg_segment_size: 384
    .language:       OpenCL C
    .language_version:
      - 2
      - 0
    .max_flat_workgroup_size: 1024
    .name:           _ZL24rocblas_symm_hemm_kernelILb1ELb0ELi32E19rocblas_complex_numIfEPKPKS1_PKPS1_EvbiiT2_T3_lllSA_lllT4_llli
    .private_segment_fixed_size: 0
    .sgpr_count:     30
    .sgpr_spill_count: 0
    .symbol:         _ZL24rocblas_symm_hemm_kernelILb1ELb0ELi32E19rocblas_complex_numIfEPKPKS1_PKPS1_EvbiiT2_T3_lllSA_lllT4_llli.kd
    .uniform_work_group_size: 1
    .uses_dynamic_stack: false
    .vgpr_count:     97
    .vgpr_spill_count: 0
    .wavefront_size: 32
    .workgroup_processor_mode: 1
  - .args:
      - .offset:         0
        .size:           1
        .value_kind:     by_value
      - .offset:         4
        .size:           4
        .value_kind:     by_value
      - .offset:         8
        .size:           4
        .value_kind:     by_value
      - .offset:         12
        .size:           8
        .value_kind:     by_value
      - .address_space:  global
        .offset:         24
        .size:           8
        .value_kind:     global_buffer
      - .offset:         32
        .size:           8
        .value_kind:     by_value
      - .offset:         40
        .size:           8
        .value_kind:     by_value
      - .offset:         48
        .size:           8
        .value_kind:     by_value
      - .address_space:  global
        .offset:         56
        .size:           8
        .value_kind:     global_buffer
      - .offset:         64
        .size:           8
        .value_kind:     by_value
      - .offset:         72
        .size:           8
        .value_kind:     by_value
      - .offset:         80
        .size:           8
        .value_kind:     by_value
      - .address_space:  global
        .offset:         88
        .size:           8
        .value_kind:     global_buffer
      - .offset:         96
        .size:           8
        .value_kind:     by_value
      - .offset:         104
        .size:           8
        .value_kind:     by_value
      - .offset:         112
        .size:           8
        .value_kind:     by_value
      - .offset:         120
        .size:           4
        .value_kind:     by_value
      - .offset:         128
        .size:           4
        .value_kind:     hidden_block_count_x
      - .offset:         132
        .size:           4
        .value_kind:     hidden_block_count_y
      - .offset:         136
        .size:           4
        .value_kind:     hidden_block_count_z
      - .offset:         140
        .size:           2
        .value_kind:     hidden_group_size_x
      - .offset:         142
        .size:           2
        .value_kind:     hidden_group_size_y
      - .offset:         144
        .size:           2
        .value_kind:     hidden_group_size_z
      - .offset:         146
        .size:           2
        .value_kind:     hidden_remainder_x
      - .offset:         148
        .size:           2
        .value_kind:     hidden_remainder_y
      - .offset:         150
        .size:           2
        .value_kind:     hidden_remainder_z
      - .offset:         168
        .size:           8
        .value_kind:     hidden_global_offset_x
      - .offset:         176
        .size:           8
        .value_kind:     hidden_global_offset_y
      - .offset:         184
        .size:           8
        .value_kind:     hidden_global_offset_z
      - .offset:         192
        .size:           2
        .value_kind:     hidden_grid_dims
    .group_segment_fixed_size: 16384
    .kernarg_segment_align: 8
    .kernarg_segment_size: 384
    .language:       OpenCL C
    .language_version:
      - 2
      - 0
    .max_flat_workgroup_size: 1024
    .name:           _ZL24rocblas_symm_hemm_kernelILb1ELb1ELi32E19rocblas_complex_numIfEPKPKS1_PKPS1_EvbiiT2_T3_lllSA_lllT4_llli
    .private_segment_fixed_size: 0
    .sgpr_count:     32
    .sgpr_spill_count: 0
    .symbol:         _ZL24rocblas_symm_hemm_kernelILb1ELb1ELi32E19rocblas_complex_numIfEPKPKS1_PKPS1_EvbiiT2_T3_lllSA_lllT4_llli.kd
    .uniform_work_group_size: 1
    .uses_dynamic_stack: false
    .vgpr_count:     101
    .vgpr_spill_count: 0
    .wavefront_size: 32
    .workgroup_processor_mode: 1
  - .args:
      - .offset:         0
        .size:           1
        .value_kind:     by_value
      - .offset:         4
        .size:           4
        .value_kind:     by_value
      - .offset:         8
        .size:           4
        .value_kind:     by_value
      - .address_space:  global
        .offset:         16
        .size:           8
        .value_kind:     global_buffer
      - .address_space:  global
        .offset:         24
        .size:           8
        .value_kind:     global_buffer
      - .offset:         32
        .size:           8
        .value_kind:     by_value
      - .offset:         40
        .size:           8
        .value_kind:     by_value
      - .offset:         48
        .size:           8
        .value_kind:     by_value
      - .address_space:  global
        .offset:         56
        .size:           8
        .value_kind:     global_buffer
      - .offset:         64
        .size:           8
        .value_kind:     by_value
      - .offset:         72
        .size:           8
        .value_kind:     by_value
      - .offset:         80
        .size:           8
        .value_kind:     by_value
      - .address_space:  global
        .offset:         88
        .size:           8
        .value_kind:     global_buffer
      - .offset:         96
        .size:           8
        .value_kind:     by_value
      - .offset:         104
        .size:           8
        .value_kind:     by_value
      - .offset:         112
        .size:           8
        .value_kind:     by_value
      - .offset:         120
        .size:           4
        .value_kind:     by_value
      - .offset:         128
        .size:           4
        .value_kind:     hidden_block_count_x
      - .offset:         132
        .size:           4
        .value_kind:     hidden_block_count_y
      - .offset:         136
        .size:           4
        .value_kind:     hidden_block_count_z
      - .offset:         140
        .size:           2
        .value_kind:     hidden_group_size_x
      - .offset:         142
        .size:           2
        .value_kind:     hidden_group_size_y
      - .offset:         144
        .size:           2
        .value_kind:     hidden_group_size_z
      - .offset:         146
        .size:           2
        .value_kind:     hidden_remainder_x
      - .offset:         148
        .size:           2
        .value_kind:     hidden_remainder_y
      - .offset:         150
        .size:           2
        .value_kind:     hidden_remainder_z
      - .offset:         168
        .size:           8
        .value_kind:     hidden_global_offset_x
      - .offset:         176
        .size:           8
        .value_kind:     hidden_global_offset_y
      - .offset:         184
        .size:           8
        .value_kind:     hidden_global_offset_z
      - .offset:         192
        .size:           2
        .value_kind:     hidden_grid_dims
    .group_segment_fixed_size: 32768
    .kernarg_segment_align: 8
    .kernarg_segment_size: 384
    .language:       OpenCL C
    .language_version:
      - 2
      - 0
    .max_flat_workgroup_size: 1024
    .name:           _ZL24rocblas_symm_hemm_kernelILb1ELb0ELi32EPK19rocblas_complex_numIdEPKS3_PKPS1_EvbiiT2_T3_lllSA_lllT4_llli
    .private_segment_fixed_size: 0
    .sgpr_count:     38
    .sgpr_spill_count: 0
    .symbol:         _ZL24rocblas_symm_hemm_kernelILb1ELb0ELi32EPK19rocblas_complex_numIdEPKS3_PKPS1_EvbiiT2_T3_lllSA_lllT4_llli.kd
    .uniform_work_group_size: 1
    .uses_dynamic_stack: false
    .vgpr_count:     61
    .vgpr_spill_count: 0
    .wavefront_size: 32
    .workgroup_processor_mode: 1
  - .args:
      - .offset:         0
        .size:           1
        .value_kind:     by_value
      - .offset:         4
        .size:           4
        .value_kind:     by_value
      - .offset:         8
        .size:           4
        .value_kind:     by_value
      - .address_space:  global
        .offset:         16
        .size:           8
        .value_kind:     global_buffer
      - .address_space:  global
        .offset:         24
        .size:           8
        .value_kind:     global_buffer
      - .offset:         32
        .size:           8
        .value_kind:     by_value
      - .offset:         40
        .size:           8
        .value_kind:     by_value
      - .offset:         48
        .size:           8
        .value_kind:     by_value
      - .address_space:  global
        .offset:         56
        .size:           8
        .value_kind:     global_buffer
      - .offset:         64
        .size:           8
        .value_kind:     by_value
      - .offset:         72
        .size:           8
        .value_kind:     by_value
      - .offset:         80
        .size:           8
        .value_kind:     by_value
      - .address_space:  global
        .offset:         88
        .size:           8
        .value_kind:     global_buffer
      - .offset:         96
        .size:           8
        .value_kind:     by_value
      - .offset:         104
        .size:           8
        .value_kind:     by_value
      - .offset:         112
        .size:           8
        .value_kind:     by_value
      - .offset:         120
        .size:           4
        .value_kind:     by_value
      - .offset:         128
        .size:           4
        .value_kind:     hidden_block_count_x
      - .offset:         132
        .size:           4
        .value_kind:     hidden_block_count_y
      - .offset:         136
        .size:           4
        .value_kind:     hidden_block_count_z
      - .offset:         140
        .size:           2
        .value_kind:     hidden_group_size_x
      - .offset:         142
        .size:           2
        .value_kind:     hidden_group_size_y
      - .offset:         144
        .size:           2
        .value_kind:     hidden_group_size_z
      - .offset:         146
        .size:           2
        .value_kind:     hidden_remainder_x
      - .offset:         148
        .size:           2
        .value_kind:     hidden_remainder_y
      - .offset:         150
        .size:           2
        .value_kind:     hidden_remainder_z
      - .offset:         168
        .size:           8
        .value_kind:     hidden_global_offset_x
      - .offset:         176
        .size:           8
        .value_kind:     hidden_global_offset_y
      - .offset:         184
        .size:           8
        .value_kind:     hidden_global_offset_z
      - .offset:         192
        .size:           2
        .value_kind:     hidden_grid_dims
    .group_segment_fixed_size: 32768
    .kernarg_segment_align: 8
    .kernarg_segment_size: 384
    .language:       OpenCL C
    .language_version:
      - 2
      - 0
    .max_flat_workgroup_size: 1024
    .name:           _ZL24rocblas_symm_hemm_kernelILb1ELb1ELi32EPK19rocblas_complex_numIdEPKS3_PKPS1_EvbiiT2_T3_lllSA_lllT4_llli
    .private_segment_fixed_size: 0
    .sgpr_count:     34
    .sgpr_spill_count: 0
    .symbol:         _ZL24rocblas_symm_hemm_kernelILb1ELb1ELi32EPK19rocblas_complex_numIdEPKS3_PKPS1_EvbiiT2_T3_lllSA_lllT4_llli.kd
    .uniform_work_group_size: 1
    .uses_dynamic_stack: false
    .vgpr_count:     61
    .vgpr_spill_count: 0
    .wavefront_size: 32
    .workgroup_processor_mode: 1
  - .args:
      - .offset:         0
        .size:           1
        .value_kind:     by_value
      - .offset:         4
        .size:           4
        .value_kind:     by_value
      - .offset:         8
        .size:           4
        .value_kind:     by_value
      - .offset:         16
        .size:           16
        .value_kind:     by_value
      - .address_space:  global
        .offset:         32
        .size:           8
        .value_kind:     global_buffer
      - .offset:         40
        .size:           8
        .value_kind:     by_value
      - .offset:         48
        .size:           8
        .value_kind:     by_value
      - .offset:         56
        .size:           8
        .value_kind:     by_value
      - .address_space:  global
        .offset:         64
        .size:           8
        .value_kind:     global_buffer
      - .offset:         72
        .size:           8
        .value_kind:     by_value
      - .offset:         80
        .size:           8
        .value_kind:     by_value
      - .offset:         88
        .size:           8
        .value_kind:     by_value
      - .address_space:  global
        .offset:         96
        .size:           8
        .value_kind:     global_buffer
      - .offset:         104
        .size:           8
        .value_kind:     by_value
      - .offset:         112
        .size:           8
        .value_kind:     by_value
      - .offset:         120
        .size:           8
        .value_kind:     by_value
      - .offset:         128
        .size:           4
        .value_kind:     by_value
      - .offset:         136
        .size:           4
        .value_kind:     hidden_block_count_x
      - .offset:         140
        .size:           4
        .value_kind:     hidden_block_count_y
      - .offset:         144
        .size:           4
        .value_kind:     hidden_block_count_z
      - .offset:         148
        .size:           2
        .value_kind:     hidden_group_size_x
      - .offset:         150
        .size:           2
        .value_kind:     hidden_group_size_y
      - .offset:         152
        .size:           2
        .value_kind:     hidden_group_size_z
      - .offset:         154
        .size:           2
        .value_kind:     hidden_remainder_x
      - .offset:         156
        .size:           2
        .value_kind:     hidden_remainder_y
      - .offset:         158
        .size:           2
        .value_kind:     hidden_remainder_z
      - .offset:         176
        .size:           8
        .value_kind:     hidden_global_offset_x
      - .offset:         184
        .size:           8
        .value_kind:     hidden_global_offset_y
      - .offset:         192
        .size:           8
        .value_kind:     hidden_global_offset_z
      - .offset:         200
        .size:           2
        .value_kind:     hidden_grid_dims
    .group_segment_fixed_size: 32768
    .kernarg_segment_align: 8
    .kernarg_segment_size: 392
    .language:       OpenCL C
    .language_version:
      - 2
      - 0
    .max_flat_workgroup_size: 1024
    .name:           _ZL24rocblas_symm_hemm_kernelILb1ELb0ELi32E19rocblas_complex_numIdEPKPKS1_PKPS1_EvbiiT2_T3_lllSA_lllT4_llli
    .private_segment_fixed_size: 0
    .sgpr_count:     32
    .sgpr_spill_count: 0
    .symbol:         _ZL24rocblas_symm_hemm_kernelILb1ELb0ELi32E19rocblas_complex_numIdEPKPKS1_PKPS1_EvbiiT2_T3_lllSA_lllT4_llli.kd
    .uniform_work_group_size: 1
    .uses_dynamic_stack: false
    .vgpr_count:     61
    .vgpr_spill_count: 0
    .wavefront_size: 32
    .workgroup_processor_mode: 1
  - .args:
      - .offset:         0
        .size:           1
        .value_kind:     by_value
      - .offset:         4
        .size:           4
        .value_kind:     by_value
      - .offset:         8
        .size:           4
        .value_kind:     by_value
      - .offset:         16
        .size:           16
        .value_kind:     by_value
      - .address_space:  global
        .offset:         32
        .size:           8
        .value_kind:     global_buffer
      - .offset:         40
        .size:           8
        .value_kind:     by_value
      - .offset:         48
        .size:           8
        .value_kind:     by_value
      - .offset:         56
        .size:           8
        .value_kind:     by_value
      - .address_space:  global
        .offset:         64
        .size:           8
        .value_kind:     global_buffer
      - .offset:         72
        .size:           8
        .value_kind:     by_value
      - .offset:         80
        .size:           8
        .value_kind:     by_value
      - .offset:         88
        .size:           8
        .value_kind:     by_value
      - .address_space:  global
        .offset:         96
        .size:           8
        .value_kind:     global_buffer
      - .offset:         104
        .size:           8
        .value_kind:     by_value
      - .offset:         112
        .size:           8
        .value_kind:     by_value
      - .offset:         120
        .size:           8
        .value_kind:     by_value
      - .offset:         128
        .size:           4
        .value_kind:     by_value
      - .offset:         136
        .size:           4
        .value_kind:     hidden_block_count_x
      - .offset:         140
        .size:           4
        .value_kind:     hidden_block_count_y
      - .offset:         144
        .size:           4
        .value_kind:     hidden_block_count_z
      - .offset:         148
        .size:           2
        .value_kind:     hidden_group_size_x
      - .offset:         150
        .size:           2
        .value_kind:     hidden_group_size_y
      - .offset:         152
        .size:           2
        .value_kind:     hidden_group_size_z
      - .offset:         154
        .size:           2
        .value_kind:     hidden_remainder_x
      - .offset:         156
        .size:           2
        .value_kind:     hidden_remainder_y
      - .offset:         158
        .size:           2
        .value_kind:     hidden_remainder_z
      - .offset:         176
        .size:           8
        .value_kind:     hidden_global_offset_x
      - .offset:         184
        .size:           8
        .value_kind:     hidden_global_offset_y
      - .offset:         192
        .size:           8
        .value_kind:     hidden_global_offset_z
      - .offset:         200
        .size:           2
        .value_kind:     hidden_grid_dims
    .group_segment_fixed_size: 32768
    .kernarg_segment_align: 8
    .kernarg_segment_size: 392
    .language:       OpenCL C
    .language_version:
      - 2
      - 0
    .max_flat_workgroup_size: 1024
    .name:           _ZL24rocblas_symm_hemm_kernelILb1ELb1ELi32E19rocblas_complex_numIdEPKPKS1_PKPS1_EvbiiT2_T3_lllSA_lllT4_llli
    .private_segment_fixed_size: 0
    .sgpr_count:     32
    .sgpr_spill_count: 0
    .symbol:         _ZL24rocblas_symm_hemm_kernelILb1ELb1ELi32E19rocblas_complex_numIdEPKPKS1_PKPS1_EvbiiT2_T3_lllSA_lllT4_llli.kd
    .uniform_work_group_size: 1
    .uses_dynamic_stack: false
    .vgpr_count:     61
    .vgpr_spill_count: 0
    .wavefront_size: 32
    .workgroup_processor_mode: 1
amdhsa.target:   amdgcn-amd-amdhsa--gfx1030
amdhsa.version:
  - 1
  - 2
...

	.end_amdgpu_metadata
